;; amdgpu-corpus repo=ROCm/rocSOLVER kind=compiled arch=gfx90a opt=O3
	.text
	.amdgcn_target "amdgcn-amd-amdhsa--gfx90a"
	.amdhsa_code_object_version 6
	.p2align	2                               ; -- Begin function __ockl_fprintf_append_string_n
	.type	__ockl_fprintf_append_string_n,@function
__ockl_fprintf_append_string_n:         ; @__ockl_fprintf_append_string_n
; %bb.0:
	s_waitcnt vmcnt(0) expcnt(0) lgkmcnt(0)
	v_mov_b32_e32 v9, v3
	v_mov_b32_e32 v8, v2
	v_or_b32_e32 v2, 2, v0
	v_cmp_eq_u32_e32 vcc, 0, v6
	s_mov_b32 s22, 0
	v_cndmask_b32_e32 v0, v2, v0, vcc
	s_mov_b64 s[6:7], 0
	v_cmp_ne_u64_e32 vcc, 0, v[8:9]
	v_mbcnt_lo_u32_b32 v2, -1, 0
	s_and_saveexec_b64 s[4:5], vcc
	s_xor_b64 s[10:11], exec, s[4:5]
	s_cbranch_execz .LBB0_86
; %bb.1:
	s_load_dwordx2 s[12:13], s[8:9], 0x50
	v_and_b32_e32 v6, 2, v0
	v_mov_b32_e32 v31, 0
	v_and_b32_e32 v0, -3, v0
	v_mbcnt_hi_u32_b32 v32, -1, v2
	s_movk_i32 s23, 0xff1f
	v_mov_b32_e32 v12, 2
	v_mov_b32_e32 v13, 1
	s_branch .LBB0_3
.LBB0_2:                                ;   in Loop: Header=BB0_3 Depth=1
	s_or_b64 exec, exec, s[16:17]
	v_sub_co_u32_e32 v4, vcc, v4, v34
	v_subb_co_u32_e32 v5, vcc, v5, v35, vcc
	v_cmp_eq_u64_e32 vcc, 0, v[4:5]
	s_or_b64 s[6:7], vcc, s[6:7]
	v_add_co_u32_e32 v8, vcc, v8, v34
	v_addc_co_u32_e32 v9, vcc, v9, v35, vcc
	s_andn2_b64 exec, exec, s[6:7]
	s_cbranch_execz .LBB0_85
.LBB0_3:                                ; =>This Loop Header: Depth=1
                                        ;     Child Loop BB0_6 Depth 2
                                        ;     Child Loop BB0_14 Depth 2
	;; [unrolled: 1-line block ×11, first 2 shown]
	v_cmp_gt_u64_e32 vcc, 56, v[4:5]
	v_cndmask_b32_e32 v35, 0, v5, vcc
	v_cndmask_b32_e32 v34, 56, v4, vcc
	v_cmp_gt_u64_e32 vcc, 8, v[4:5]
                                        ; implicit-def: $vgpr2_vgpr3
                                        ; implicit-def: $sgpr14
	s_and_saveexec_b64 s[4:5], vcc
	s_xor_b64 s[4:5], exec, s[4:5]
	s_cbranch_execz .LBB0_9
; %bb.4:                                ;   in Loop: Header=BB0_3 Depth=1
	s_mov_b64 s[16:17], 0
	v_cmp_ne_u64_e32 vcc, 0, v[4:5]
	s_waitcnt vmcnt(0)
	v_pk_mov_b32 v[2:3], 0, 0
	s_and_saveexec_b64 s[14:15], vcc
	s_cbranch_execz .LBB0_8
; %bb.5:                                ;   in Loop: Header=BB0_3 Depth=1
	v_lshlrev_b64 v[10:11], 3, v[34:35]
	v_pk_mov_b32 v[2:3], 0, 0
	v_pk_mov_b32 v[14:15], v[8:9], v[8:9] op_sel:[0,1]
	s_mov_b64 s[18:19], 0
.LBB0_6:                                ;   Parent Loop BB0_3 Depth=1
                                        ; =>  This Inner Loop Header: Depth=2
	flat_load_ubyte v7, v[14:15]
	v_mov_b32_e32 v17, s22
	v_add_co_u32_e32 v14, vcc, 1, v14
	v_addc_co_u32_e32 v15, vcc, 0, v15, vcc
	s_waitcnt vmcnt(0) lgkmcnt(0)
	v_and_b32_e32 v16, 0xffff, v7
	v_lshlrev_b64 v[16:17], s18, v[16:17]
	s_add_u32 s18, s18, 8
	s_addc_u32 s19, s19, 0
	v_cmp_eq_u32_e32 vcc, s18, v10
	v_or_b32_e32 v3, v17, v3
	s_or_b64 s[16:17], vcc, s[16:17]
	v_or_b32_e32 v2, v16, v2
	s_andn2_b64 exec, exec, s[16:17]
	s_cbranch_execnz .LBB0_6
; %bb.7:                                ;   in Loop: Header=BB0_3 Depth=1
	s_or_b64 exec, exec, s[16:17]
.LBB0_8:                                ;   in Loop: Header=BB0_3 Depth=1
	s_or_b64 exec, exec, s[14:15]
	s_mov_b32 s14, 0
.LBB0_9:                                ;   in Loop: Header=BB0_3 Depth=1
	s_or_saveexec_b64 s[4:5], s[4:5]
	v_mov_b32_e32 v7, s14
	v_pk_mov_b32 v[10:11], v[8:9], v[8:9] op_sel:[0,1]
	s_xor_b64 exec, exec, s[4:5]
	s_cbranch_execz .LBB0_11
; %bb.10:                               ;   in Loop: Header=BB0_3 Depth=1
	s_waitcnt vmcnt(0)
	flat_load_dwordx2 v[2:3], v[8:9]
	v_add_u32_e32 v7, -8, v34
	s_waitcnt vmcnt(0) lgkmcnt(0)
	v_and_b32_e32 v10, 0xff, v3
	v_and_b32_e32 v11, 0xff00, v3
	;; [unrolled: 1-line block ×4, first 2 shown]
	v_or_b32_e32 v10, v10, v11
	v_or3_b32 v3, v10, v14, v3
	v_add_co_u32_e32 v10, vcc, 8, v8
	v_or3_b32 v2, v2, 0, 0
	v_addc_co_u32_e32 v11, vcc, 0, v9, vcc
.LBB0_11:                               ;   in Loop: Header=BB0_3 Depth=1
	s_or_b64 exec, exec, s[4:5]
	v_cmp_gt_u32_e32 vcc, 8, v7
                                        ; implicit-def: $vgpr14_vgpr15
                                        ; implicit-def: $sgpr14
	s_and_saveexec_b64 s[4:5], vcc
	s_xor_b64 s[4:5], exec, s[4:5]
	s_cbranch_execz .LBB0_17
; %bb.12:                               ;   in Loop: Header=BB0_3 Depth=1
	v_cmp_ne_u32_e32 vcc, 0, v7
	v_pk_mov_b32 v[14:15], 0, 0
	s_and_saveexec_b64 s[14:15], vcc
	s_cbranch_execz .LBB0_16
; %bb.13:                               ;   in Loop: Header=BB0_3 Depth=1
	s_mov_b64 s[16:17], 0
	v_pk_mov_b32 v[14:15], 0, 0
	s_mov_b64 s[18:19], 0
	s_mov_b64 s[20:21], 0
.LBB0_14:                               ;   Parent Loop BB0_3 Depth=1
                                        ; =>  This Inner Loop Header: Depth=2
	v_mov_b32_e32 v17, s21
	v_add_co_u32_e32 v16, vcc, s20, v10
	v_addc_co_u32_e32 v17, vcc, v11, v17, vcc
	flat_load_ubyte v16, v[16:17]
	s_add_u32 s20, s20, 1
	v_mov_b32_e32 v17, s22
	s_addc_u32 s21, s21, 0
	v_cmp_eq_u32_e32 vcc, s20, v7
	s_waitcnt vmcnt(0) lgkmcnt(0)
	v_and_b32_e32 v16, 0xffff, v16
	v_lshlrev_b64 v[16:17], s18, v[16:17]
	s_add_u32 s18, s18, 8
	s_addc_u32 s19, s19, 0
	v_or_b32_e32 v15, v17, v15
	s_or_b64 s[16:17], vcc, s[16:17]
	v_or_b32_e32 v14, v16, v14
	s_andn2_b64 exec, exec, s[16:17]
	s_cbranch_execnz .LBB0_14
; %bb.15:                               ;   in Loop: Header=BB0_3 Depth=1
	s_or_b64 exec, exec, s[16:17]
.LBB0_16:                               ;   in Loop: Header=BB0_3 Depth=1
	s_or_b64 exec, exec, s[14:15]
	s_mov_b32 s14, 0
                                        ; implicit-def: $vgpr7
.LBB0_17:                               ;   in Loop: Header=BB0_3 Depth=1
	s_or_saveexec_b64 s[4:5], s[4:5]
	v_mov_b32_e32 v18, s14
	s_xor_b64 exec, exec, s[4:5]
	s_cbranch_execz .LBB0_19
; %bb.18:                               ;   in Loop: Header=BB0_3 Depth=1
	flat_load_dwordx2 v[14:15], v[10:11]
	v_add_u32_e32 v18, -8, v7
	v_add_co_u32_e32 v10, vcc, 8, v10
	v_addc_co_u32_e32 v11, vcc, 0, v11, vcc
	s_waitcnt vmcnt(0) lgkmcnt(0)
	v_and_b32_e32 v7, 0xff, v15
	v_and_b32_e32 v16, 0xff00, v15
	;; [unrolled: 1-line block ×4, first 2 shown]
	v_or_b32_e32 v7, v7, v16
	v_or3_b32 v14, v14, 0, 0
	v_or3_b32 v15, v7, v17, v15
.LBB0_19:                               ;   in Loop: Header=BB0_3 Depth=1
	s_or_b64 exec, exec, s[4:5]
	v_cmp_gt_u32_e32 vcc, 8, v18
                                        ; implicit-def: $sgpr14
	s_and_saveexec_b64 s[4:5], vcc
	s_xor_b64 s[4:5], exec, s[4:5]
	s_cbranch_execz .LBB0_25
; %bb.20:                               ;   in Loop: Header=BB0_3 Depth=1
	v_cmp_ne_u32_e32 vcc, 0, v18
	v_pk_mov_b32 v[16:17], 0, 0
	s_and_saveexec_b64 s[14:15], vcc
	s_cbranch_execz .LBB0_24
; %bb.21:                               ;   in Loop: Header=BB0_3 Depth=1
	s_mov_b64 s[16:17], 0
	v_pk_mov_b32 v[16:17], 0, 0
	s_mov_b64 s[18:19], 0
	s_mov_b64 s[20:21], 0
.LBB0_22:                               ;   Parent Loop BB0_3 Depth=1
                                        ; =>  This Inner Loop Header: Depth=2
	v_mov_b32_e32 v7, s21
	v_add_co_u32_e32 v20, vcc, s20, v10
	v_addc_co_u32_e32 v21, vcc, v11, v7, vcc
	flat_load_ubyte v7, v[20:21]
	s_add_u32 s20, s20, 1
	v_mov_b32_e32 v21, s22
	s_addc_u32 s21, s21, 0
	v_cmp_eq_u32_e32 vcc, s20, v18
	s_waitcnt vmcnt(0) lgkmcnt(0)
	v_and_b32_e32 v20, 0xffff, v7
	v_lshlrev_b64 v[20:21], s18, v[20:21]
	s_add_u32 s18, s18, 8
	s_addc_u32 s19, s19, 0
	v_or_b32_e32 v17, v21, v17
	s_or_b64 s[16:17], vcc, s[16:17]
	v_or_b32_e32 v16, v20, v16
	s_andn2_b64 exec, exec, s[16:17]
	s_cbranch_execnz .LBB0_22
; %bb.23:                               ;   in Loop: Header=BB0_3 Depth=1
	s_or_b64 exec, exec, s[16:17]
.LBB0_24:                               ;   in Loop: Header=BB0_3 Depth=1
	s_or_b64 exec, exec, s[14:15]
	s_mov_b32 s14, 0
                                        ; implicit-def: $vgpr18
.LBB0_25:                               ;   in Loop: Header=BB0_3 Depth=1
	s_or_saveexec_b64 s[4:5], s[4:5]
	v_mov_b32_e32 v7, s14
	s_xor_b64 exec, exec, s[4:5]
	s_cbranch_execz .LBB0_27
; %bb.26:                               ;   in Loop: Header=BB0_3 Depth=1
	flat_load_dwordx2 v[16:17], v[10:11]
	v_add_u32_e32 v7, -8, v18
	v_add_co_u32_e32 v10, vcc, 8, v10
	v_addc_co_u32_e32 v11, vcc, 0, v11, vcc
	s_waitcnt vmcnt(0) lgkmcnt(0)
	v_and_b32_e32 v18, 0xff, v17
	v_and_b32_e32 v19, 0xff00, v17
	;; [unrolled: 1-line block ×4, first 2 shown]
	v_or_b32_e32 v18, v18, v19
	v_or3_b32 v16, v16, 0, 0
	v_or3_b32 v17, v18, v20, v17
.LBB0_27:                               ;   in Loop: Header=BB0_3 Depth=1
	s_or_b64 exec, exec, s[4:5]
	v_cmp_gt_u32_e32 vcc, 8, v7
                                        ; implicit-def: $vgpr18_vgpr19
                                        ; implicit-def: $sgpr14
	s_and_saveexec_b64 s[4:5], vcc
	s_xor_b64 s[4:5], exec, s[4:5]
	s_cbranch_execz .LBB0_33
; %bb.28:                               ;   in Loop: Header=BB0_3 Depth=1
	v_cmp_ne_u32_e32 vcc, 0, v7
	v_pk_mov_b32 v[18:19], 0, 0
	s_and_saveexec_b64 s[14:15], vcc
	s_cbranch_execz .LBB0_32
; %bb.29:                               ;   in Loop: Header=BB0_3 Depth=1
	s_mov_b64 s[16:17], 0
	v_pk_mov_b32 v[18:19], 0, 0
	s_mov_b64 s[18:19], 0
	s_mov_b64 s[20:21], 0
.LBB0_30:                               ;   Parent Loop BB0_3 Depth=1
                                        ; =>  This Inner Loop Header: Depth=2
	v_mov_b32_e32 v21, s21
	v_add_co_u32_e32 v20, vcc, s20, v10
	v_addc_co_u32_e32 v21, vcc, v11, v21, vcc
	flat_load_ubyte v20, v[20:21]
	s_add_u32 s20, s20, 1
	v_mov_b32_e32 v21, s22
	s_addc_u32 s21, s21, 0
	v_cmp_eq_u32_e32 vcc, s20, v7
	s_waitcnt vmcnt(0) lgkmcnt(0)
	v_and_b32_e32 v20, 0xffff, v20
	v_lshlrev_b64 v[20:21], s18, v[20:21]
	s_add_u32 s18, s18, 8
	s_addc_u32 s19, s19, 0
	v_or_b32_e32 v19, v21, v19
	s_or_b64 s[16:17], vcc, s[16:17]
	v_or_b32_e32 v18, v20, v18
	s_andn2_b64 exec, exec, s[16:17]
	s_cbranch_execnz .LBB0_30
; %bb.31:                               ;   in Loop: Header=BB0_3 Depth=1
	s_or_b64 exec, exec, s[16:17]
.LBB0_32:                               ;   in Loop: Header=BB0_3 Depth=1
	s_or_b64 exec, exec, s[14:15]
	s_mov_b32 s14, 0
                                        ; implicit-def: $vgpr7
.LBB0_33:                               ;   in Loop: Header=BB0_3 Depth=1
	s_or_saveexec_b64 s[4:5], s[4:5]
	v_mov_b32_e32 v22, s14
	s_xor_b64 exec, exec, s[4:5]
	s_cbranch_execz .LBB0_35
; %bb.34:                               ;   in Loop: Header=BB0_3 Depth=1
	flat_load_dwordx2 v[18:19], v[10:11]
	v_add_u32_e32 v22, -8, v7
	v_add_co_u32_e32 v10, vcc, 8, v10
	v_addc_co_u32_e32 v11, vcc, 0, v11, vcc
	s_waitcnt vmcnt(0) lgkmcnt(0)
	v_and_b32_e32 v7, 0xff, v19
	v_and_b32_e32 v20, 0xff00, v19
	;; [unrolled: 1-line block ×4, first 2 shown]
	v_or_b32_e32 v7, v7, v20
	v_or3_b32 v18, v18, 0, 0
	v_or3_b32 v19, v7, v21, v19
.LBB0_35:                               ;   in Loop: Header=BB0_3 Depth=1
	s_or_b64 exec, exec, s[4:5]
	v_cmp_gt_u32_e32 vcc, 8, v22
                                        ; implicit-def: $sgpr14
	s_and_saveexec_b64 s[4:5], vcc
	s_xor_b64 s[4:5], exec, s[4:5]
	s_cbranch_execz .LBB0_41
; %bb.36:                               ;   in Loop: Header=BB0_3 Depth=1
	v_cmp_ne_u32_e32 vcc, 0, v22
	v_pk_mov_b32 v[20:21], 0, 0
	s_and_saveexec_b64 s[14:15], vcc
	s_cbranch_execz .LBB0_40
; %bb.37:                               ;   in Loop: Header=BB0_3 Depth=1
	s_mov_b64 s[16:17], 0
	v_pk_mov_b32 v[20:21], 0, 0
	s_mov_b64 s[18:19], 0
	s_mov_b64 s[20:21], 0
.LBB0_38:                               ;   Parent Loop BB0_3 Depth=1
                                        ; =>  This Inner Loop Header: Depth=2
	v_mov_b32_e32 v7, s21
	v_add_co_u32_e32 v24, vcc, s20, v10
	v_addc_co_u32_e32 v25, vcc, v11, v7, vcc
	flat_load_ubyte v7, v[24:25]
	s_add_u32 s20, s20, 1
	v_mov_b32_e32 v25, s22
	s_addc_u32 s21, s21, 0
	v_cmp_eq_u32_e32 vcc, s20, v22
	s_waitcnt vmcnt(0) lgkmcnt(0)
	v_and_b32_e32 v24, 0xffff, v7
	v_lshlrev_b64 v[24:25], s18, v[24:25]
	s_add_u32 s18, s18, 8
	s_addc_u32 s19, s19, 0
	v_or_b32_e32 v21, v25, v21
	s_or_b64 s[16:17], vcc, s[16:17]
	v_or_b32_e32 v20, v24, v20
	s_andn2_b64 exec, exec, s[16:17]
	s_cbranch_execnz .LBB0_38
; %bb.39:                               ;   in Loop: Header=BB0_3 Depth=1
	s_or_b64 exec, exec, s[16:17]
.LBB0_40:                               ;   in Loop: Header=BB0_3 Depth=1
	s_or_b64 exec, exec, s[14:15]
	s_mov_b32 s14, 0
                                        ; implicit-def: $vgpr22
.LBB0_41:                               ;   in Loop: Header=BB0_3 Depth=1
	s_or_saveexec_b64 s[4:5], s[4:5]
	v_mov_b32_e32 v7, s14
	s_xor_b64 exec, exec, s[4:5]
	s_cbranch_execz .LBB0_43
; %bb.42:                               ;   in Loop: Header=BB0_3 Depth=1
	flat_load_dwordx2 v[20:21], v[10:11]
	v_add_u32_e32 v7, -8, v22
	v_add_co_u32_e32 v10, vcc, 8, v10
	v_addc_co_u32_e32 v11, vcc, 0, v11, vcc
	s_waitcnt vmcnt(0) lgkmcnt(0)
	v_and_b32_e32 v22, 0xff, v21
	v_and_b32_e32 v23, 0xff00, v21
	;; [unrolled: 1-line block ×4, first 2 shown]
	v_or_b32_e32 v22, v22, v23
	v_or3_b32 v20, v20, 0, 0
	v_or3_b32 v21, v22, v24, v21
.LBB0_43:                               ;   in Loop: Header=BB0_3 Depth=1
	s_or_b64 exec, exec, s[4:5]
	v_cmp_gt_u32_e32 vcc, 8, v7
                                        ; implicit-def: $vgpr22_vgpr23
                                        ; implicit-def: $sgpr14
	s_and_saveexec_b64 s[4:5], vcc
	s_xor_b64 s[4:5], exec, s[4:5]
	s_cbranch_execz .LBB0_49
; %bb.44:                               ;   in Loop: Header=BB0_3 Depth=1
	v_cmp_ne_u32_e32 vcc, 0, v7
	v_pk_mov_b32 v[22:23], 0, 0
	s_and_saveexec_b64 s[14:15], vcc
	s_cbranch_execz .LBB0_48
; %bb.45:                               ;   in Loop: Header=BB0_3 Depth=1
	s_mov_b64 s[16:17], 0
	v_pk_mov_b32 v[22:23], 0, 0
	s_mov_b64 s[18:19], 0
	s_mov_b64 s[20:21], 0
.LBB0_46:                               ;   Parent Loop BB0_3 Depth=1
                                        ; =>  This Inner Loop Header: Depth=2
	v_mov_b32_e32 v25, s21
	v_add_co_u32_e32 v24, vcc, s20, v10
	v_addc_co_u32_e32 v25, vcc, v11, v25, vcc
	flat_load_ubyte v24, v[24:25]
	s_add_u32 s20, s20, 1
	v_mov_b32_e32 v25, s22
	s_addc_u32 s21, s21, 0
	v_cmp_eq_u32_e32 vcc, s20, v7
	s_waitcnt vmcnt(0) lgkmcnt(0)
	v_and_b32_e32 v24, 0xffff, v24
	v_lshlrev_b64 v[24:25], s18, v[24:25]
	s_add_u32 s18, s18, 8
	s_addc_u32 s19, s19, 0
	v_or_b32_e32 v23, v25, v23
	s_or_b64 s[16:17], vcc, s[16:17]
	v_or_b32_e32 v22, v24, v22
	s_andn2_b64 exec, exec, s[16:17]
	s_cbranch_execnz .LBB0_46
; %bb.47:                               ;   in Loop: Header=BB0_3 Depth=1
	s_or_b64 exec, exec, s[16:17]
.LBB0_48:                               ;   in Loop: Header=BB0_3 Depth=1
	s_or_b64 exec, exec, s[14:15]
	s_mov_b32 s14, 0
                                        ; implicit-def: $vgpr7
.LBB0_49:                               ;   in Loop: Header=BB0_3 Depth=1
	s_or_saveexec_b64 s[4:5], s[4:5]
	v_mov_b32_e32 v26, s14
	s_xor_b64 exec, exec, s[4:5]
	s_cbranch_execz .LBB0_51
; %bb.50:                               ;   in Loop: Header=BB0_3 Depth=1
	flat_load_dwordx2 v[22:23], v[10:11]
	v_add_u32_e32 v26, -8, v7
	v_add_co_u32_e32 v10, vcc, 8, v10
	v_addc_co_u32_e32 v11, vcc, 0, v11, vcc
	s_waitcnt vmcnt(0) lgkmcnt(0)
	v_and_b32_e32 v7, 0xff, v23
	v_and_b32_e32 v24, 0xff00, v23
	v_and_b32_e32 v25, 0xff0000, v23
	v_and_b32_e32 v23, 0xff000000, v23
	v_or_b32_e32 v7, v7, v24
	v_or3_b32 v22, v22, 0, 0
	v_or3_b32 v23, v7, v25, v23
.LBB0_51:                               ;   in Loop: Header=BB0_3 Depth=1
	s_or_b64 exec, exec, s[4:5]
	v_cmp_gt_u32_e32 vcc, 8, v26
	s_and_saveexec_b64 s[4:5], vcc
	s_xor_b64 s[4:5], exec, s[4:5]
	s_cbranch_execz .LBB0_57
; %bb.52:                               ;   in Loop: Header=BB0_3 Depth=1
	v_cmp_ne_u32_e32 vcc, 0, v26
	v_pk_mov_b32 v[24:25], 0, 0
	s_and_saveexec_b64 s[14:15], vcc
	s_cbranch_execz .LBB0_56
; %bb.53:                               ;   in Loop: Header=BB0_3 Depth=1
	s_mov_b64 s[16:17], 0
	v_pk_mov_b32 v[24:25], 0, 0
	s_mov_b64 s[18:19], 0
.LBB0_54:                               ;   Parent Loop BB0_3 Depth=1
                                        ; =>  This Inner Loop Header: Depth=2
	flat_load_ubyte v7, v[10:11]
	v_mov_b32_e32 v29, s22
	v_add_co_u32_e32 v10, vcc, 1, v10
	v_add_u32_e32 v26, -1, v26
	v_addc_co_u32_e32 v11, vcc, 0, v11, vcc
	v_cmp_eq_u32_e32 vcc, 0, v26
	s_waitcnt vmcnt(0) lgkmcnt(0)
	v_and_b32_e32 v28, 0xffff, v7
	v_lshlrev_b64 v[28:29], s18, v[28:29]
	s_add_u32 s18, s18, 8
	s_addc_u32 s19, s19, 0
	v_or_b32_e32 v25, v29, v25
	s_or_b64 s[16:17], vcc, s[16:17]
	v_or_b32_e32 v24, v28, v24
	s_andn2_b64 exec, exec, s[16:17]
	s_cbranch_execnz .LBB0_54
; %bb.55:                               ;   in Loop: Header=BB0_3 Depth=1
	s_or_b64 exec, exec, s[16:17]
.LBB0_56:                               ;   in Loop: Header=BB0_3 Depth=1
	s_or_b64 exec, exec, s[14:15]
                                        ; implicit-def: $vgpr10_vgpr11
.LBB0_57:                               ;   in Loop: Header=BB0_3 Depth=1
	s_andn2_saveexec_b64 s[4:5], s[4:5]
	s_cbranch_execz .LBB0_59
; %bb.58:                               ;   in Loop: Header=BB0_3 Depth=1
	flat_load_dwordx2 v[10:11], v[10:11]
	s_waitcnt vmcnt(0) lgkmcnt(0)
	v_and_b32_e32 v7, 0xff, v11
	v_and_b32_e32 v24, 0xff00, v11
	;; [unrolled: 1-line block ×4, first 2 shown]
	v_or_b32_e32 v7, v7, v24
	v_or3_b32 v25, v7, v25, v11
	v_or3_b32 v24, v10, 0, 0
.LBB0_59:                               ;   in Loop: Header=BB0_3 Depth=1
	s_or_b64 exec, exec, s[4:5]
	v_readfirstlane_b32 s4, v32
	v_cmp_eq_u32_e64 s[4:5], s4, v32
	v_pk_mov_b32 v[10:11], 0, 0
	s_and_saveexec_b64 s[14:15], s[4:5]
	s_cbranch_execz .LBB0_65
; %bb.60:                               ;   in Loop: Header=BB0_3 Depth=1
	s_waitcnt lgkmcnt(0)
	global_load_dwordx2 v[28:29], v31, s[12:13] offset:24 glc
	s_waitcnt vmcnt(0)
	buffer_invl2
	buffer_wbinvl1_vol
	global_load_dwordx2 v[10:11], v31, s[12:13] offset:40
	global_load_dwordx2 v[26:27], v31, s[12:13]
	s_waitcnt vmcnt(1)
	v_and_b32_e32 v7, v10, v28
	v_and_b32_e32 v10, v11, v29
	v_mul_lo_u32 v10, v10, 24
	v_mul_hi_u32 v11, v7, 24
	v_mul_lo_u32 v7, v7, 24
	v_add_u32_e32 v11, v11, v10
	s_waitcnt vmcnt(0)
	v_add_co_u32_e32 v10, vcc, v26, v7
	v_addc_co_u32_e32 v11, vcc, v27, v11, vcc
	global_load_dwordx2 v[26:27], v[10:11], off glc
	s_waitcnt vmcnt(0)
	global_atomic_cmpswap_x2 v[10:11], v31, v[26:29], s[12:13] offset:24 glc
	s_waitcnt vmcnt(0)
	buffer_invl2
	buffer_wbinvl1_vol
	v_cmp_ne_u64_e32 vcc, v[10:11], v[28:29]
	s_and_saveexec_b64 s[16:17], vcc
	s_cbranch_execz .LBB0_64
; %bb.61:                               ;   in Loop: Header=BB0_3 Depth=1
	s_mov_b64 s[18:19], 0
.LBB0_62:                               ;   Parent Loop BB0_3 Depth=1
                                        ; =>  This Inner Loop Header: Depth=2
	s_sleep 1
	global_load_dwordx2 v[26:27], v31, s[12:13] offset:40
	global_load_dwordx2 v[36:37], v31, s[12:13]
	v_pk_mov_b32 v[28:29], v[10:11], v[10:11] op_sel:[0,1]
	s_waitcnt vmcnt(1)
	v_and_b32_e32 v10, v26, v28
	s_waitcnt vmcnt(0)
	v_mad_u64_u32 v[10:11], s[20:21], v10, 24, v[36:37]
	v_and_b32_e32 v7, v27, v29
	v_mov_b32_e32 v26, v11
	v_mad_u64_u32 v[26:27], s[20:21], v7, 24, v[26:27]
	v_mov_b32_e32 v11, v26
	global_load_dwordx2 v[26:27], v[10:11], off glc
	s_waitcnt vmcnt(0)
	global_atomic_cmpswap_x2 v[10:11], v31, v[26:29], s[12:13] offset:24 glc
	s_waitcnt vmcnt(0)
	buffer_invl2
	buffer_wbinvl1_vol
	v_cmp_eq_u64_e32 vcc, v[10:11], v[28:29]
	s_or_b64 s[18:19], vcc, s[18:19]
	s_andn2_b64 exec, exec, s[18:19]
	s_cbranch_execnz .LBB0_62
; %bb.63:                               ;   in Loop: Header=BB0_3 Depth=1
	s_or_b64 exec, exec, s[18:19]
.LBB0_64:                               ;   in Loop: Header=BB0_3 Depth=1
	s_or_b64 exec, exec, s[16:17]
.LBB0_65:                               ;   in Loop: Header=BB0_3 Depth=1
	s_or_b64 exec, exec, s[14:15]
	s_waitcnt lgkmcnt(0)
	global_load_dwordx2 v[36:37], v31, s[12:13] offset:40
	global_load_dwordx4 v[26:29], v31, s[12:13]
	v_readfirstlane_b32 s14, v10
	v_readfirstlane_b32 s15, v11
	s_mov_b64 s[16:17], exec
	s_waitcnt vmcnt(1)
	v_readfirstlane_b32 s18, v36
	v_readfirstlane_b32 s19, v37
	s_and_b64 s[18:19], s[14:15], s[18:19]
	s_mul_i32 s20, s19, 24
	s_mul_hi_u32 s21, s18, 24
	s_mul_i32 s24, s18, 24
	s_add_i32 s20, s21, s20
	v_mov_b32_e32 v7, s20
	s_waitcnt vmcnt(0)
	v_add_co_u32_e32 v36, vcc, s24, v26
	v_addc_co_u32_e32 v37, vcc, v27, v7, vcc
	s_and_saveexec_b64 s[20:21], s[4:5]
	s_cbranch_execz .LBB0_67
; %bb.66:                               ;   in Loop: Header=BB0_3 Depth=1
	v_pk_mov_b32 v[10:11], s[16:17], s[16:17] op_sel:[0,1]
	global_store_dwordx4 v[36:37], v[10:13], off offset:8
.LBB0_67:                               ;   in Loop: Header=BB0_3 Depth=1
	s_or_b64 exec, exec, s[20:21]
	s_lshl_b64 s[16:17], s[18:19], 12
	v_mov_b32_e32 v7, s17
	v_add_co_u32_e32 v10, vcc, s16, v28
	v_addc_co_u32_e32 v7, vcc, v29, v7, vcc
	v_or_b32_e32 v11, 0, v1
	v_cmp_lt_u64_e32 vcc, 56, v[4:5]
	v_or_b32_e32 v28, v0, v6
	v_cndmask_b32_e32 v1, v11, v1, vcc
	v_lshl_add_u32 v11, v34, 2, 28
	v_cndmask_b32_e32 v0, v28, v0, vcc
	v_and_b32_e32 v11, 0x1e0, v11
	v_and_or_b32 v0, v0, s23, v11
	v_lshlrev_b32_e32 v11, 6, v32
	v_readfirstlane_b32 s16, v10
	v_readfirstlane_b32 s17, v7
	s_nop 4
	global_store_dwordx4 v11, v[0:3], s[16:17]
	global_store_dwordx4 v11, v[14:17], s[16:17] offset:16
	global_store_dwordx4 v11, v[18:21], s[16:17] offset:32
	;; [unrolled: 1-line block ×3, first 2 shown]
	s_and_saveexec_b64 s[16:17], s[4:5]
	s_cbranch_execz .LBB0_75
; %bb.68:                               ;   in Loop: Header=BB0_3 Depth=1
	global_load_dwordx2 v[18:19], v31, s[12:13] offset:32 glc
	global_load_dwordx2 v[0:1], v31, s[12:13] offset:40
	v_mov_b32_e32 v16, s14
	v_mov_b32_e32 v17, s15
	s_waitcnt vmcnt(0)
	v_readfirstlane_b32 s18, v0
	v_readfirstlane_b32 s19, v1
	s_and_b64 s[18:19], s[18:19], s[14:15]
	s_mul_i32 s19, s19, 24
	s_mul_hi_u32 s20, s18, 24
	s_mul_i32 s18, s18, 24
	s_add_i32 s19, s20, s19
	v_mov_b32_e32 v0, s19
	v_add_co_u32_e32 v14, vcc, s18, v26
	v_addc_co_u32_e32 v15, vcc, v27, v0, vcc
	global_store_dwordx2 v[14:15], v[18:19], off
	buffer_wbl2
	s_waitcnt vmcnt(0)
	global_atomic_cmpswap_x2 v[2:3], v31, v[16:19], s[12:13] offset:32 glc
	s_waitcnt vmcnt(0)
	v_cmp_ne_u64_e32 vcc, v[2:3], v[18:19]
	s_and_saveexec_b64 s[18:19], vcc
	s_cbranch_execz .LBB0_71
; %bb.69:                               ;   in Loop: Header=BB0_3 Depth=1
	s_mov_b64 s[20:21], 0
.LBB0_70:                               ;   Parent Loop BB0_3 Depth=1
                                        ; =>  This Inner Loop Header: Depth=2
	s_sleep 1
	global_store_dwordx2 v[14:15], v[2:3], off
	v_mov_b32_e32 v0, s14
	v_mov_b32_e32 v1, s15
	buffer_wbl2
	s_waitcnt vmcnt(0)
	global_atomic_cmpswap_x2 v[0:1], v31, v[0:3], s[12:13] offset:32 glc
	s_waitcnt vmcnt(0)
	v_cmp_eq_u64_e32 vcc, v[0:1], v[2:3]
	s_or_b64 s[20:21], vcc, s[20:21]
	v_pk_mov_b32 v[2:3], v[0:1], v[0:1] op_sel:[0,1]
	s_andn2_b64 exec, exec, s[20:21]
	s_cbranch_execnz .LBB0_70
.LBB0_71:                               ;   in Loop: Header=BB0_3 Depth=1
	s_or_b64 exec, exec, s[18:19]
	global_load_dwordx2 v[0:1], v31, s[12:13] offset:16
	s_mov_b64 s[20:21], exec
	v_mbcnt_lo_u32_b32 v2, s20, 0
	v_mbcnt_hi_u32_b32 v2, s21, v2
	v_cmp_eq_u32_e32 vcc, 0, v2
	s_and_saveexec_b64 s[18:19], vcc
	s_cbranch_execz .LBB0_73
; %bb.72:                               ;   in Loop: Header=BB0_3 Depth=1
	s_bcnt1_i32_b64 s20, s[20:21]
	v_mov_b32_e32 v30, s20
	buffer_wbl2
	s_waitcnt vmcnt(0)
	global_atomic_add_x2 v[0:1], v[30:31], off offset:8
.LBB0_73:                               ;   in Loop: Header=BB0_3 Depth=1
	s_or_b64 exec, exec, s[18:19]
	s_waitcnt vmcnt(0)
	global_load_dwordx2 v[2:3], v[0:1], off offset:16
	s_waitcnt vmcnt(0)
	v_cmp_eq_u64_e32 vcc, 0, v[2:3]
	s_cbranch_vccnz .LBB0_75
; %bb.74:                               ;   in Loop: Header=BB0_3 Depth=1
	global_load_dword v30, v[0:1], off offset:24
	s_waitcnt vmcnt(0)
	v_and_b32_e32 v0, 0xffffff, v30
	v_readfirstlane_b32 m0, v0
	buffer_wbl2
	global_store_dwordx2 v[2:3], v[30:31], off
	s_sendmsg sendmsg(MSG_INTERRUPT)
.LBB0_75:                               ;   in Loop: Header=BB0_3 Depth=1
	s_or_b64 exec, exec, s[16:17]
	v_add_co_u32_e32 v0, vcc, v10, v11
	v_addc_co_u32_e32 v1, vcc, 0, v7, vcc
	s_branch .LBB0_79
.LBB0_76:                               ;   in Loop: Header=BB0_79 Depth=2
	s_or_b64 exec, exec, s[16:17]
	v_readfirstlane_b32 s16, v2
	s_cmp_eq_u32 s16, 0
	s_cbranch_scc1 .LBB0_78
; %bb.77:                               ;   in Loop: Header=BB0_79 Depth=2
	s_sleep 1
	s_cbranch_execnz .LBB0_79
	s_branch .LBB0_81
.LBB0_78:                               ;   in Loop: Header=BB0_3 Depth=1
	s_branch .LBB0_81
.LBB0_79:                               ;   Parent Loop BB0_3 Depth=1
                                        ; =>  This Inner Loop Header: Depth=2
	v_mov_b32_e32 v2, 1
	s_and_saveexec_b64 s[16:17], s[4:5]
	s_cbranch_execz .LBB0_76
; %bb.80:                               ;   in Loop: Header=BB0_79 Depth=2
	global_load_dword v2, v[36:37], off offset:20 glc
	s_waitcnt vmcnt(0)
	buffer_invl2
	buffer_wbinvl1_vol
	v_and_b32_e32 v2, 1, v2
	s_branch .LBB0_76
.LBB0_81:                               ;   in Loop: Header=BB0_3 Depth=1
	global_load_dwordx4 v[0:3], v[0:1], off
	s_and_saveexec_b64 s[16:17], s[4:5]
	s_cbranch_execz .LBB0_2
; %bb.82:                               ;   in Loop: Header=BB0_3 Depth=1
	global_load_dwordx2 v[2:3], v31, s[12:13] offset:40
	global_load_dwordx2 v[10:11], v31, s[12:13] offset:24 glc
	global_load_dwordx2 v[18:19], v31, s[12:13]
	v_mov_b32_e32 v7, s15
	s_waitcnt vmcnt(2)
	v_add_co_u32_e32 v17, vcc, 1, v2
	v_addc_co_u32_e32 v20, vcc, 0, v3, vcc
	v_add_co_u32_e32 v14, vcc, s14, v17
	v_addc_co_u32_e32 v15, vcc, v20, v7, vcc
	v_cmp_eq_u64_e32 vcc, 0, v[14:15]
	v_cndmask_b32_e32 v15, v15, v20, vcc
	v_cndmask_b32_e32 v14, v14, v17, vcc
	v_and_b32_e32 v3, v15, v3
	v_and_b32_e32 v2, v14, v2
	v_mul_lo_u32 v3, v3, 24
	v_mul_hi_u32 v7, v2, 24
	v_mul_lo_u32 v2, v2, 24
	v_add_u32_e32 v3, v7, v3
	s_waitcnt vmcnt(0)
	v_add_co_u32_e32 v2, vcc, v18, v2
	v_addc_co_u32_e32 v3, vcc, v19, v3, vcc
	v_mov_b32_e32 v16, v10
	global_store_dwordx2 v[2:3], v[10:11], off
	v_mov_b32_e32 v17, v11
	buffer_wbl2
	s_waitcnt vmcnt(0)
	global_atomic_cmpswap_x2 v[16:17], v31, v[14:17], s[12:13] offset:24 glc
	s_waitcnt vmcnt(0)
	v_cmp_ne_u64_e32 vcc, v[16:17], v[10:11]
	s_and_b64 exec, exec, vcc
	s_cbranch_execz .LBB0_2
; %bb.83:                               ;   in Loop: Header=BB0_3 Depth=1
	s_mov_b64 s[4:5], 0
.LBB0_84:                               ;   Parent Loop BB0_3 Depth=1
                                        ; =>  This Inner Loop Header: Depth=2
	s_sleep 1
	global_store_dwordx2 v[2:3], v[16:17], off
	buffer_wbl2
	s_waitcnt vmcnt(0)
	global_atomic_cmpswap_x2 v[10:11], v31, v[14:17], s[12:13] offset:24 glc
	s_waitcnt vmcnt(0)
	v_cmp_eq_u64_e32 vcc, v[10:11], v[16:17]
	s_or_b64 s[4:5], vcc, s[4:5]
	v_pk_mov_b32 v[16:17], v[10:11], v[10:11] op_sel:[0,1]
	s_andn2_b64 exec, exec, s[4:5]
	s_cbranch_execnz .LBB0_84
	s_branch .LBB0_2
.LBB0_85:
	s_or_b64 exec, exec, s[6:7]
                                        ; implicit-def: $vgpr0
                                        ; implicit-def: $vgpr1
                                        ; implicit-def: $vgpr2
.LBB0_86:
	s_andn2_saveexec_b64 s[6:7], s[10:11]
	s_cbranch_execz .LBB0_109
; %bb.87:
	s_load_dwordx2 s[8:9], s[8:9], 0x50
	s_waitcnt vmcnt(0)
	v_mbcnt_hi_u32_b32 v3, -1, v2
	v_readfirstlane_b32 s4, v3
	v_cmp_eq_u32_e64 s[4:5], s4, v3
	v_pk_mov_b32 v[8:9], 0, 0
	s_and_saveexec_b64 s[10:11], s[4:5]
	s_cbranch_execz .LBB0_93
; %bb.88:
	v_mov_b32_e32 v2, 0
	s_waitcnt lgkmcnt(0)
	global_load_dwordx2 v[6:7], v2, s[8:9] offset:24 glc
	s_waitcnt vmcnt(0)
	buffer_invl2
	buffer_wbinvl1_vol
	global_load_dwordx2 v[4:5], v2, s[8:9] offset:40
	global_load_dwordx2 v[8:9], v2, s[8:9]
	s_waitcnt vmcnt(1)
	v_and_b32_e32 v4, v4, v6
	v_and_b32_e32 v5, v5, v7
	v_mul_lo_u32 v5, v5, 24
	v_mul_hi_u32 v10, v4, 24
	v_mul_lo_u32 v4, v4, 24
	v_add_u32_e32 v5, v10, v5
	s_waitcnt vmcnt(0)
	v_add_co_u32_e32 v4, vcc, v8, v4
	v_addc_co_u32_e32 v5, vcc, v9, v5, vcc
	global_load_dwordx2 v[4:5], v[4:5], off glc
	s_waitcnt vmcnt(0)
	global_atomic_cmpswap_x2 v[8:9], v2, v[4:7], s[8:9] offset:24 glc
	s_waitcnt vmcnt(0)
	buffer_invl2
	buffer_wbinvl1_vol
	v_cmp_ne_u64_e32 vcc, v[8:9], v[6:7]
	s_and_saveexec_b64 s[12:13], vcc
	s_cbranch_execz .LBB0_92
; %bb.89:
	s_mov_b64 s[14:15], 0
.LBB0_90:                               ; =>This Inner Loop Header: Depth=1
	s_sleep 1
	global_load_dwordx2 v[4:5], v2, s[8:9] offset:40
	global_load_dwordx2 v[10:11], v2, s[8:9]
	v_pk_mov_b32 v[6:7], v[8:9], v[8:9] op_sel:[0,1]
	s_waitcnt vmcnt(1)
	v_and_b32_e32 v4, v4, v6
	v_and_b32_e32 v9, v5, v7
	s_waitcnt vmcnt(0)
	v_mad_u64_u32 v[4:5], s[16:17], v4, 24, v[10:11]
	v_mov_b32_e32 v8, v5
	v_mad_u64_u32 v[8:9], s[16:17], v9, 24, v[8:9]
	v_mov_b32_e32 v5, v8
	global_load_dwordx2 v[4:5], v[4:5], off glc
	s_waitcnt vmcnt(0)
	global_atomic_cmpswap_x2 v[8:9], v2, v[4:7], s[8:9] offset:24 glc
	s_waitcnt vmcnt(0)
	buffer_invl2
	buffer_wbinvl1_vol
	v_cmp_eq_u64_e32 vcc, v[8:9], v[6:7]
	s_or_b64 s[14:15], vcc, s[14:15]
	s_andn2_b64 exec, exec, s[14:15]
	s_cbranch_execnz .LBB0_90
; %bb.91:
	s_or_b64 exec, exec, s[14:15]
.LBB0_92:
	s_or_b64 exec, exec, s[12:13]
.LBB0_93:
	s_or_b64 exec, exec, s[10:11]
	v_mov_b32_e32 v2, 0
	s_waitcnt lgkmcnt(0)
	global_load_dwordx2 v[10:11], v2, s[8:9] offset:40
	global_load_dwordx4 v[4:7], v2, s[8:9]
	v_readfirstlane_b32 s10, v8
	v_readfirstlane_b32 s11, v9
	s_mov_b64 s[12:13], exec
	s_waitcnt vmcnt(1)
	v_readfirstlane_b32 s14, v10
	v_readfirstlane_b32 s15, v11
	s_and_b64 s[14:15], s[10:11], s[14:15]
	s_mul_i32 s16, s15, 24
	s_mul_hi_u32 s17, s14, 24
	s_mul_i32 s18, s14, 24
	s_add_i32 s16, s17, s16
	v_mov_b32_e32 v9, s16
	s_waitcnt vmcnt(0)
	v_add_co_u32_e32 v8, vcc, s18, v4
	v_addc_co_u32_e32 v9, vcc, v5, v9, vcc
	s_and_saveexec_b64 s[16:17], s[4:5]
	s_cbranch_execz .LBB0_95
; %bb.94:
	v_pk_mov_b32 v[10:11], s[12:13], s[12:13] op_sel:[0,1]
	v_mov_b32_e32 v12, 2
	v_mov_b32_e32 v13, 1
	global_store_dwordx4 v[8:9], v[10:13], off offset:8
.LBB0_95:
	s_or_b64 exec, exec, s[16:17]
	s_lshl_b64 s[12:13], s[14:15], 12
	v_mov_b32_e32 v10, s13
	v_add_co_u32_e32 v6, vcc, s12, v6
	s_movk_i32 s12, 0xff1f
	v_addc_co_u32_e32 v7, vcc, v7, v10, vcc
	v_and_or_b32 v0, v0, s12, 32
	s_mov_b32 s12, 0
	v_lshlrev_b32_e32 v10, 6, v3
	v_mov_b32_e32 v3, v2
	v_readfirstlane_b32 s16, v6
	v_readfirstlane_b32 s17, v7
	s_mov_b32 s13, s12
	s_mov_b32 s14, s12
	;; [unrolled: 1-line block ×3, first 2 shown]
	s_nop 1
	global_store_dwordx4 v10, v[0:3], s[16:17]
	s_nop 0
	v_pk_mov_b32 v[0:1], s[12:13], s[12:13] op_sel:[0,1]
	v_pk_mov_b32 v[2:3], s[14:15], s[14:15] op_sel:[0,1]
	global_store_dwordx4 v10, v[0:3], s[16:17] offset:16
	global_store_dwordx4 v10, v[0:3], s[16:17] offset:32
	;; [unrolled: 1-line block ×3, first 2 shown]
	s_and_saveexec_b64 s[12:13], s[4:5]
	s_cbranch_execz .LBB0_103
; %bb.96:
	v_mov_b32_e32 v6, 0
	global_load_dwordx2 v[12:13], v6, s[8:9] offset:32 glc
	global_load_dwordx2 v[0:1], v6, s[8:9] offset:40
	v_mov_b32_e32 v10, s10
	v_mov_b32_e32 v11, s11
	s_waitcnt vmcnt(0)
	v_and_b32_e32 v0, s10, v0
	v_and_b32_e32 v1, s11, v1
	v_mul_lo_u32 v1, v1, 24
	v_mul_hi_u32 v2, v0, 24
	v_mul_lo_u32 v0, v0, 24
	v_add_u32_e32 v1, v2, v1
	v_add_co_u32_e32 v4, vcc, v4, v0
	v_addc_co_u32_e32 v5, vcc, v5, v1, vcc
	global_store_dwordx2 v[4:5], v[12:13], off
	buffer_wbl2
	s_waitcnt vmcnt(0)
	global_atomic_cmpswap_x2 v[2:3], v6, v[10:13], s[8:9] offset:32 glc
	s_waitcnt vmcnt(0)
	v_cmp_ne_u64_e32 vcc, v[2:3], v[12:13]
	s_and_saveexec_b64 s[14:15], vcc
	s_cbranch_execz .LBB0_99
; %bb.97:
	s_mov_b64 s[16:17], 0
.LBB0_98:                               ; =>This Inner Loop Header: Depth=1
	s_sleep 1
	global_store_dwordx2 v[4:5], v[2:3], off
	v_mov_b32_e32 v0, s10
	v_mov_b32_e32 v1, s11
	buffer_wbl2
	s_waitcnt vmcnt(0)
	global_atomic_cmpswap_x2 v[0:1], v6, v[0:3], s[8:9] offset:32 glc
	s_waitcnt vmcnt(0)
	v_cmp_eq_u64_e32 vcc, v[0:1], v[2:3]
	s_or_b64 s[16:17], vcc, s[16:17]
	v_pk_mov_b32 v[2:3], v[0:1], v[0:1] op_sel:[0,1]
	s_andn2_b64 exec, exec, s[16:17]
	s_cbranch_execnz .LBB0_98
.LBB0_99:
	s_or_b64 exec, exec, s[14:15]
	v_mov_b32_e32 v3, 0
	global_load_dwordx2 v[0:1], v3, s[8:9] offset:16
	s_mov_b64 s[14:15], exec
	v_mbcnt_lo_u32_b32 v2, s14, 0
	v_mbcnt_hi_u32_b32 v2, s15, v2
	v_cmp_eq_u32_e32 vcc, 0, v2
	s_and_saveexec_b64 s[16:17], vcc
	s_cbranch_execz .LBB0_101
; %bb.100:
	s_bcnt1_i32_b64 s14, s[14:15]
	v_mov_b32_e32 v2, s14
	buffer_wbl2
	s_waitcnt vmcnt(0)
	global_atomic_add_x2 v[0:1], v[2:3], off offset:8
.LBB0_101:
	s_or_b64 exec, exec, s[16:17]
	s_waitcnt vmcnt(0)
	global_load_dwordx2 v[2:3], v[0:1], off offset:16
	s_waitcnt vmcnt(0)
	v_cmp_eq_u64_e32 vcc, 0, v[2:3]
	s_cbranch_vccnz .LBB0_103
; %bb.102:
	global_load_dword v0, v[0:1], off offset:24
	v_mov_b32_e32 v1, 0
	buffer_wbl2
	s_waitcnt vmcnt(0)
	global_store_dwordx2 v[2:3], v[0:1], off
	v_and_b32_e32 v0, 0xffffff, v0
	v_readfirstlane_b32 m0, v0
	s_sendmsg sendmsg(MSG_INTERRUPT)
.LBB0_103:
	s_or_b64 exec, exec, s[12:13]
	s_branch .LBB0_107
.LBB0_104:                              ;   in Loop: Header=BB0_107 Depth=1
	s_or_b64 exec, exec, s[12:13]
	v_readfirstlane_b32 s12, v0
	s_cmp_eq_u32 s12, 0
	s_cbranch_scc1 .LBB0_106
; %bb.105:                              ;   in Loop: Header=BB0_107 Depth=1
	s_sleep 1
	s_cbranch_execnz .LBB0_107
	s_branch .LBB0_110
.LBB0_106:
	s_branch .LBB0_110
.LBB0_107:                              ; =>This Inner Loop Header: Depth=1
	v_mov_b32_e32 v0, 1
	s_and_saveexec_b64 s[12:13], s[4:5]
	s_cbranch_execz .LBB0_104
; %bb.108:                              ;   in Loop: Header=BB0_107 Depth=1
	global_load_dword v0, v[8:9], off offset:20 glc
	s_waitcnt vmcnt(0)
	buffer_invl2
	buffer_wbinvl1_vol
	v_and_b32_e32 v0, 1, v0
	s_branch .LBB0_104
.LBB0_109:
	s_or_b64 exec, exec, s[6:7]
	s_waitcnt vmcnt(0) lgkmcnt(0)
	s_setpc_b64 s[30:31]
.LBB0_110:
	s_and_saveexec_b64 s[12:13], s[4:5]
	s_cbranch_execz .LBB0_113
; %bb.111:
	v_mov_b32_e32 v6, 0
	global_load_dwordx2 v[4:5], v6, s[8:9] offset:40
	global_load_dwordx2 v[8:9], v6, s[8:9] offset:24 glc
	global_load_dwordx2 v[10:11], v6, s[8:9]
	v_mov_b32_e32 v1, s11
	s_mov_b64 s[4:5], 0
	s_waitcnt vmcnt(2)
	v_add_co_u32_e32 v3, vcc, 1, v4
	v_addc_co_u32_e32 v7, vcc, 0, v5, vcc
	v_add_co_u32_e32 v0, vcc, s10, v3
	v_addc_co_u32_e32 v1, vcc, v7, v1, vcc
	v_cmp_eq_u64_e32 vcc, 0, v[0:1]
	v_cndmask_b32_e32 v1, v1, v7, vcc
	v_cndmask_b32_e32 v0, v0, v3, vcc
	v_and_b32_e32 v3, v1, v5
	v_and_b32_e32 v4, v0, v4
	v_mul_lo_u32 v3, v3, 24
	v_mul_hi_u32 v5, v4, 24
	v_mul_lo_u32 v4, v4, 24
	v_add_u32_e32 v3, v5, v3
	s_waitcnt vmcnt(0)
	v_add_co_u32_e32 v4, vcc, v10, v4
	v_addc_co_u32_e32 v5, vcc, v11, v3, vcc
	v_mov_b32_e32 v2, v8
	global_store_dwordx2 v[4:5], v[8:9], off
	v_mov_b32_e32 v3, v9
	buffer_wbl2
	s_waitcnt vmcnt(0)
	global_atomic_cmpswap_x2 v[2:3], v6, v[0:3], s[8:9] offset:24 glc
	s_waitcnt vmcnt(0)
	v_cmp_ne_u64_e32 vcc, v[2:3], v[8:9]
	s_and_b64 exec, exec, vcc
	s_cbranch_execz .LBB0_113
.LBB0_112:                              ; =>This Inner Loop Header: Depth=1
	s_sleep 1
	global_store_dwordx2 v[4:5], v[2:3], off
	buffer_wbl2
	s_waitcnt vmcnt(0)
	global_atomic_cmpswap_x2 v[8:9], v6, v[0:3], s[8:9] offset:24 glc
	s_waitcnt vmcnt(0)
	v_cmp_eq_u64_e32 vcc, v[8:9], v[2:3]
	s_or_b64 s[4:5], vcc, s[4:5]
	v_pk_mov_b32 v[2:3], v[8:9], v[8:9] op_sel:[0,1]
	s_andn2_b64 exec, exec, s[4:5]
	s_cbranch_execnz .LBB0_112
.LBB0_113:
	s_or_b64 exec, exec, s[12:13]
	s_or_b64 exec, exec, s[6:7]
	s_waitcnt vmcnt(0) lgkmcnt(0)
	s_setpc_b64 s[30:31]
.Lfunc_end0:
	.size	__ockl_fprintf_append_string_n, .Lfunc_end0-__ockl_fprintf_append_string_n
                                        ; -- End function
	.section	.AMDGPU.csdata,"",@progbits
; Function info:
; codeLenInByte = 4372
; NumSgprs: 36
; NumVgprs: 38
; NumAgprs: 0
; TotalNumVgprs: 38
; ScratchSize: 0
; MemoryBound: 0
	.text
	.p2align	2                               ; -- Begin function __assert_fail
	.type	__assert_fail,@function
__assert_fail:                          ; @__assert_fail
; %bb.0:
	s_waitcnt vmcnt(0) expcnt(0) lgkmcnt(0)
	s_mov_b32 s25, s33
	s_mov_b32 s33, s32
	s_or_saveexec_b64 s[4:5], -1
	buffer_store_dword v40, off, s[0:3], s33 offset:48 ; 4-byte Folded Spill
	s_mov_b64 exec, s[4:5]
	v_writelane_b32 v40, s30, 0
	s_addk_i32 s32, 0x1000
	v_writelane_b32 v40, s31, 1
	s_getpc_b64 s[4:5]
	s_add_u32 s4, s4, __const.__assert_fail.fmt@rel32@lo+4
	s_addc_u32 s5, s5, __const.__assert_fail.fmt@rel32@hi+12
	s_load_dwordx4 s[4:7], s[4:5], 0x0
	v_mov_b32_e32 v6, v0
	v_mov_b32_e32 v0, 0xa2e
	buffer_store_short v0, off, s[0:3], s33 offset:44
	v_mov_b32_e32 v0, 0x64656c69
	buffer_store_dword v0, off, s[0:3], s33 offset:40
	v_mov_b32_e32 v0, 0x61662027
	s_getpc_b64 s[10:11]
	s_add_u32 s10, s10, __const.__assert_fail.fmt@rel32@lo+20
	s_addc_u32 s11, s11, __const.__assert_fail.fmt@rel32@hi+28
	buffer_store_dword v0, off, s[0:3], s33 offset:36
	v_mov_b32_e32 v0, 0x73256020
	s_load_dwordx4 s[12:15], s[10:11], 0x0
	buffer_store_dword v0, off, s[0:3], s33 offset:32
	s_waitcnt lgkmcnt(0)
	v_mov_b32_e32 v0, s7
	buffer_store_dword v0, off, s[0:3], s33 offset:12
	v_mov_b32_e32 v0, s6
	buffer_store_dword v0, off, s[0:3], s33 offset:8
	v_mov_b32_e32 v0, s5
	buffer_store_dword v0, off, s[0:3], s33 offset:4
	v_mov_b32_e32 v0, s4
	buffer_store_dword v0, off, s[0:3], s33
	v_mov_b32_e32 v0, s15
	buffer_store_dword v0, off, s[0:3], s33 offset:28
	v_mov_b32_e32 v0, s14
	buffer_store_dword v0, off, s[0:3], s33 offset:24
	;; [unrolled: 2-line block ×3, first 2 shown]
	v_mov_b32_e32 v0, s12
	s_load_dwordx2 s[10:11], s[8:9], 0x50
	buffer_store_dword v0, off, s[0:3], s33 offset:16
	v_mbcnt_lo_u32_b32 v0, -1, 0
	v_mbcnt_hi_u32_b32 v49, -1, v0
	v_readfirstlane_b32 s4, v49
	v_mov_b32_e32 v37, v4
	v_mov_b32_e32 v36, v3
	;; [unrolled: 1-line block ×4, first 2 shown]
	v_cmp_eq_u32_e64 s[4:5], s4, v49
	v_pk_mov_b32 v[0:1], 0, 0
	buffer_store_byte v3, off, s[0:3], s33 offset:46
	s_and_saveexec_b64 s[6:7], s[4:5]
	s_cbranch_execz .LBB1_6
; %bb.1:
	s_waitcnt lgkmcnt(0)
	global_load_dwordx2 v[10:11], v3, s[10:11] offset:24 glc
	s_waitcnt vmcnt(0)
	buffer_invl2
	buffer_wbinvl1_vol
	global_load_dwordx2 v[0:1], v3, s[10:11] offset:40
	global_load_dwordx2 v[4:5], v3, s[10:11]
	s_waitcnt vmcnt(1)
	v_and_b32_e32 v0, v0, v10
	v_and_b32_e32 v1, v1, v11
	v_mul_lo_u32 v1, v1, 24
	v_mul_hi_u32 v8, v0, 24
	v_mul_lo_u32 v0, v0, 24
	v_add_u32_e32 v1, v8, v1
	s_waitcnt vmcnt(0)
	v_add_co_u32_e32 v0, vcc, v4, v0
	v_addc_co_u32_e32 v1, vcc, v5, v1, vcc
	global_load_dwordx2 v[8:9], v[0:1], off glc
	s_waitcnt vmcnt(0)
	global_atomic_cmpswap_x2 v[0:1], v3, v[8:11], s[10:11] offset:24 glc
	s_waitcnt vmcnt(0)
	buffer_invl2
	buffer_wbinvl1_vol
	v_cmp_ne_u64_e32 vcc, v[0:1], v[10:11]
	s_and_saveexec_b64 s[12:13], vcc
	s_cbranch_execz .LBB1_5
; %bb.2:
	s_mov_b64 s[14:15], 0
.LBB1_3:                                ; =>This Inner Loop Header: Depth=1
	s_sleep 1
	global_load_dwordx2 v[4:5], v3, s[10:11] offset:40
	global_load_dwordx2 v[8:9], v3, s[10:11]
	v_pk_mov_b32 v[10:11], v[0:1], v[0:1] op_sel:[0,1]
	s_waitcnt vmcnt(1)
	v_and_b32_e32 v0, v4, v10
	s_waitcnt vmcnt(0)
	v_mad_u64_u32 v[0:1], s[16:17], v0, 24, v[8:9]
	v_and_b32_e32 v5, v5, v11
	v_mov_b32_e32 v4, v1
	v_mad_u64_u32 v[4:5], s[16:17], v5, 24, v[4:5]
	v_mov_b32_e32 v1, v4
	global_load_dwordx2 v[8:9], v[0:1], off glc
	s_waitcnt vmcnt(0)
	global_atomic_cmpswap_x2 v[0:1], v3, v[8:11], s[10:11] offset:24 glc
	s_waitcnt vmcnt(0)
	buffer_invl2
	buffer_wbinvl1_vol
	v_cmp_eq_u64_e32 vcc, v[0:1], v[10:11]
	s_or_b64 s[14:15], vcc, s[14:15]
	s_andn2_b64 exec, exec, s[14:15]
	s_cbranch_execnz .LBB1_3
; %bb.4:
	s_or_b64 exec, exec, s[14:15]
.LBB1_5:
	s_or_b64 exec, exec, s[12:13]
.LBB1_6:
	s_or_b64 exec, exec, s[6:7]
	s_waitcnt lgkmcnt(0)
	global_load_dwordx2 v[4:5], v3, s[10:11] offset:40
	global_load_dwordx4 v[8:11], v3, s[10:11]
	v_readfirstlane_b32 s6, v0
	v_readfirstlane_b32 s7, v1
	s_mov_b64 s[12:13], exec
	s_waitcnt vmcnt(1)
	v_readfirstlane_b32 s14, v4
	v_readfirstlane_b32 s15, v5
	s_and_b64 s[14:15], s[6:7], s[14:15]
	s_mul_i32 s16, s15, 24
	s_mul_hi_u32 s17, s14, 24
	s_mul_i32 s18, s14, 24
	s_add_i32 s16, s17, s16
	v_mov_b32_e32 v1, s16
	s_waitcnt vmcnt(0)
	v_add_co_u32_e32 v0, vcc, s18, v8
	v_addc_co_u32_e32 v1, vcc, v9, v1, vcc
	s_and_saveexec_b64 s[16:17], s[4:5]
	s_cbranch_execz .LBB1_8
; %bb.7:
	v_pk_mov_b32 v[12:13], s[12:13], s[12:13] op_sel:[0,1]
	v_mov_b32_e32 v14, 2
	v_mov_b32_e32 v15, 1
	global_store_dwordx4 v[0:1], v[12:15], off offset:8
.LBB1_8:
	s_or_b64 exec, exec, s[16:17]
	s_lshl_b64 s[12:13], s[14:15], 12
	v_mov_b32_e32 v3, s13
	v_add_co_u32_e32 v14, vcc, s12, v10
	v_addc_co_u32_e32 v3, vcc, v11, v3, vcc
	s_mov_b32 s12, 0
	v_mov_b32_e32 v11, 0
	v_lshlrev_b32_e32 v48, 6, v49
	v_mov_b32_e32 v10, 33
	v_mov_b32_e32 v12, 1
	;; [unrolled: 1-line block ×3, first 2 shown]
	v_readfirstlane_b32 s16, v14
	v_readfirstlane_b32 s17, v3
	s_mov_b32 s13, s12
	v_add_co_u32_e32 v4, vcc, v14, v48
	s_mov_b32 s14, s12
	s_mov_b32 s15, s12
	s_nop 0
	global_store_dwordx4 v48, v[10:13], s[16:17]
	v_addc_co_u32_e32 v5, vcc, 0, v3, vcc
	v_pk_mov_b32 v[12:13], s[12:13], s[12:13] op_sel:[0,1]
	v_pk_mov_b32 v[14:15], s[14:15], s[14:15] op_sel:[0,1]
	global_store_dwordx4 v48, v[12:15], s[16:17] offset:16
	global_store_dwordx4 v48, v[12:15], s[16:17] offset:32
	;; [unrolled: 1-line block ×3, first 2 shown]
	s_and_saveexec_b64 s[12:13], s[4:5]
	s_cbranch_execz .LBB1_16
; %bb.9:
	global_load_dwordx2 v[16:17], v11, s[10:11] offset:32 glc
	global_load_dwordx2 v[12:13], v11, s[10:11] offset:40
	v_mov_b32_e32 v14, s6
	v_mov_b32_e32 v15, s7
	s_waitcnt vmcnt(0)
	v_and_b32_e32 v3, s6, v12
	v_and_b32_e32 v10, s7, v13
	v_mul_lo_u32 v10, v10, 24
	v_mul_hi_u32 v12, v3, 24
	v_mul_lo_u32 v3, v3, 24
	v_add_u32_e32 v10, v12, v10
	v_add_co_u32_e32 v8, vcc, v8, v3
	v_addc_co_u32_e32 v9, vcc, v9, v10, vcc
	global_store_dwordx2 v[8:9], v[16:17], off
	buffer_wbl2
	s_waitcnt vmcnt(0)
	global_atomic_cmpswap_x2 v[14:15], v11, v[14:17], s[10:11] offset:32 glc
	s_waitcnt vmcnt(0)
	v_cmp_ne_u64_e32 vcc, v[14:15], v[16:17]
	s_and_saveexec_b64 s[14:15], vcc
	s_cbranch_execz .LBB1_12
; %bb.10:
	s_mov_b64 s[16:17], 0
.LBB1_11:                               ; =>This Inner Loop Header: Depth=1
	s_sleep 1
	global_store_dwordx2 v[8:9], v[14:15], off
	v_mov_b32_e32 v12, s6
	v_mov_b32_e32 v13, s7
	buffer_wbl2
	s_waitcnt vmcnt(0)
	global_atomic_cmpswap_x2 v[12:13], v11, v[12:15], s[10:11] offset:32 glc
	s_waitcnt vmcnt(0)
	v_cmp_eq_u64_e32 vcc, v[12:13], v[14:15]
	s_or_b64 s[16:17], vcc, s[16:17]
	v_pk_mov_b32 v[14:15], v[12:13], v[12:13] op_sel:[0,1]
	s_andn2_b64 exec, exec, s[16:17]
	s_cbranch_execnz .LBB1_11
.LBB1_12:
	s_or_b64 exec, exec, s[14:15]
	v_mov_b32_e32 v11, 0
	global_load_dwordx2 v[8:9], v11, s[10:11] offset:16
	s_mov_b64 s[14:15], exec
	v_mbcnt_lo_u32_b32 v3, s14, 0
	v_mbcnt_hi_u32_b32 v3, s15, v3
	v_cmp_eq_u32_e32 vcc, 0, v3
	s_and_saveexec_b64 s[16:17], vcc
	s_cbranch_execz .LBB1_14
; %bb.13:
	s_bcnt1_i32_b64 s14, s[14:15]
	v_mov_b32_e32 v10, s14
	buffer_wbl2
	s_waitcnt vmcnt(0)
	global_atomic_add_x2 v[8:9], v[10:11], off offset:8
.LBB1_14:
	s_or_b64 exec, exec, s[16:17]
	s_waitcnt vmcnt(0)
	global_load_dwordx2 v[10:11], v[8:9], off offset:16
	s_waitcnt vmcnt(0)
	v_cmp_eq_u64_e32 vcc, 0, v[10:11]
	s_cbranch_vccnz .LBB1_16
; %bb.15:
	global_load_dword v8, v[8:9], off offset:24
	v_mov_b32_e32 v9, 0
	s_waitcnt vmcnt(0)
	v_and_b32_e32 v3, 0xffffff, v8
	v_readfirstlane_b32 m0, v3
	buffer_wbl2
	global_store_dwordx2 v[10:11], v[8:9], off
	s_sendmsg sendmsg(MSG_INTERRUPT)
.LBB1_16:
	s_or_b64 exec, exec, s[12:13]
	s_branch .LBB1_20
.LBB1_17:                               ;   in Loop: Header=BB1_20 Depth=1
	s_or_b64 exec, exec, s[12:13]
	v_readfirstlane_b32 s12, v3
	s_cmp_eq_u32 s12, 0
	s_cbranch_scc1 .LBB1_19
; %bb.18:                               ;   in Loop: Header=BB1_20 Depth=1
	s_sleep 1
	s_cbranch_execnz .LBB1_20
	s_branch .LBB1_22
.LBB1_19:
	s_branch .LBB1_22
.LBB1_20:                               ; =>This Inner Loop Header: Depth=1
	v_mov_b32_e32 v3, 1
	s_and_saveexec_b64 s[12:13], s[4:5]
	s_cbranch_execz .LBB1_17
; %bb.21:                               ;   in Loop: Header=BB1_20 Depth=1
	global_load_dword v3, v[0:1], off offset:20 glc
	s_waitcnt vmcnt(0)
	buffer_invl2
	buffer_wbinvl1_vol
	v_and_b32_e32 v3, 1, v3
	s_branch .LBB1_17
.LBB1_22:
	global_load_dwordx2 v[12:13], v[4:5], off
	s_and_saveexec_b64 s[12:13], s[4:5]
	s_cbranch_execz .LBB1_25
; %bb.23:
	v_mov_b32_e32 v3, 0
	global_load_dwordx2 v[0:1], v3, s[10:11] offset:40
	global_load_dwordx2 v[4:5], v3, s[10:11] offset:24 glc
	global_load_dwordx2 v[14:15], v3, s[10:11]
	v_mov_b32_e32 v9, s7
	s_mov_b64 s[4:5], 0
	s_waitcnt vmcnt(2)
	v_add_co_u32_e32 v11, vcc, 1, v0
	v_addc_co_u32_e32 v16, vcc, 0, v1, vcc
	v_add_co_u32_e32 v8, vcc, s6, v11
	v_addc_co_u32_e32 v9, vcc, v16, v9, vcc
	v_cmp_eq_u64_e32 vcc, 0, v[8:9]
	v_cndmask_b32_e32 v9, v9, v16, vcc
	v_cndmask_b32_e32 v8, v8, v11, vcc
	v_and_b32_e32 v1, v9, v1
	v_and_b32_e32 v0, v8, v0
	v_mul_lo_u32 v1, v1, 24
	v_mul_hi_u32 v11, v0, 24
	v_mul_lo_u32 v0, v0, 24
	v_add_u32_e32 v1, v11, v1
	s_waitcnt vmcnt(0)
	v_add_co_u32_e32 v0, vcc, v14, v0
	v_addc_co_u32_e32 v1, vcc, v15, v1, vcc
	v_mov_b32_e32 v10, v4
	global_store_dwordx2 v[0:1], v[4:5], off
	v_mov_b32_e32 v11, v5
	buffer_wbl2
	s_waitcnt vmcnt(0)
	global_atomic_cmpswap_x2 v[10:11], v3, v[8:11], s[10:11] offset:24 glc
	s_waitcnt vmcnt(0)
	v_cmp_ne_u64_e32 vcc, v[10:11], v[4:5]
	s_and_b64 exec, exec, vcc
	s_cbranch_execz .LBB1_25
.LBB1_24:                               ; =>This Inner Loop Header: Depth=1
	s_sleep 1
	global_store_dwordx2 v[0:1], v[10:11], off
	buffer_wbl2
	s_waitcnt vmcnt(0)
	global_atomic_cmpswap_x2 v[4:5], v3, v[8:11], s[10:11] offset:24 glc
	s_waitcnt vmcnt(0)
	v_cmp_eq_u64_e32 vcc, v[4:5], v[10:11]
	s_or_b64 s[4:5], vcc, s[4:5]
	v_pk_mov_b32 v[10:11], v[4:5], v[4:5] op_sel:[0,1]
	s_andn2_b64 exec, exec, s[4:5]
	s_cbranch_execnz .LBB1_24
.LBB1_25:
	s_or_b64 exec, exec, s[12:13]
	v_lshrrev_b32_e64 v1, 6, s33
	s_mov_b64 s[4:5], 0
.LBB1_26:                               ; =>This Inner Loop Header: Depth=1
	buffer_load_ubyte v3, v1, s[0:3], 0 offen
	v_add_u32_e32 v0, 1, v1
	v_mov_b32_e32 v1, v0
	s_waitcnt vmcnt(0)
	v_cmp_eq_u16_e32 vcc, 0, v3
	s_or_b64 s[4:5], vcc, s[4:5]
	s_andn2_b64 exec, exec, s[4:5]
	s_cbranch_execnz .LBB1_26
; %bb.27:
	s_or_b64 exec, exec, s[4:5]
	v_lshrrev_b32_e64 v5, 6, s33
	v_cmp_ne_u32_e32 vcc, -1, v5
	s_cbranch_vccz .LBB1_112
; %bb.28:
	v_lshrrev_b32_e64 v1, 6, s33
	v_subrev_u32_e32 v0, v1, v0
	v_ashrrev_i32_e32 v1, 31, v0
	v_and_b32_e32 v4, 2, v12
	v_mov_b32_e32 v35, 0
	v_and_b32_e32 v8, -3, v12
	v_mov_b32_e32 v9, v13
	s_mov_b64 s[12:13], 0
	s_mov_b32 s20, 0
	s_movk_i32 s21, 0xff1f
	v_mov_b32_e32 v16, 2
	v_mov_b32_e32 v17, 1
	s_branch .LBB1_30
.LBB1_29:                               ;   in Loop: Header=BB1_30 Depth=1
	s_or_b64 exec, exec, s[6:7]
	v_sub_co_u32_e32 v0, vcc, v0, v50
	v_subb_co_u32_e32 v1, vcc, v1, v15, vcc
	v_cmp_eq_u64_e32 vcc, 0, v[0:1]
	s_or_b64 s[12:13], vcc, s[12:13]
	v_add_u32_e32 v5, v5, v50
	s_andn2_b64 exec, exec, s[12:13]
	s_cbranch_execz .LBB1_113
.LBB1_30:                               ; =>This Loop Header: Depth=1
                                        ;     Child Loop BB1_33 Depth 2
                                        ;     Child Loop BB1_41 Depth 2
	;; [unrolled: 1-line block ×11, first 2 shown]
	v_cmp_gt_u64_e32 vcc, 56, v[0:1]
	v_cndmask_b32_e32 v50, 56, v0, vcc
	v_cmp_gt_u64_e64 s[4:5], 8, v[0:1]
                                        ; implicit-def: $vgpr10_vgpr11
                                        ; implicit-def: $sgpr14
	s_and_saveexec_b64 s[6:7], s[4:5]
	s_xor_b64 s[6:7], exec, s[6:7]
	s_cbranch_execz .LBB1_36
; %bb.31:                               ;   in Loop: Header=BB1_30 Depth=1
	s_mov_b64 s[16:17], 0
	v_cmp_ne_u64_e64 s[4:5], 0, v[0:1]
	s_waitcnt vmcnt(0)
	v_pk_mov_b32 v[10:11], 0, 0
	s_and_saveexec_b64 s[14:15], s[4:5]
	s_cbranch_execz .LBB1_35
; %bb.32:                               ;   in Loop: Header=BB1_30 Depth=1
	s_mov_b32 s22, 0
	v_pk_mov_b32 v[10:11], 0, 0
	s_mov_b64 s[18:19], 0
.LBB1_33:                               ;   Parent Loop BB1_30 Depth=1
                                        ; =>  This Inner Loop Header: Depth=2
	v_add_u32_e32 v3, s22, v5
	buffer_load_ubyte v3, v3, s[0:3], 0 offen
	v_mov_b32_e32 v15, s20
	s_add_i32 s22, s22, 1
	v_cmp_eq_u32_e64 s[4:5], s22, v50
	s_waitcnt vmcnt(0)
	v_and_b32_e32 v14, 0xffff, v3
	v_lshlrev_b64 v[14:15], s18, v[14:15]
	s_add_u32 s18, s18, 8
	s_addc_u32 s19, s19, 0
	v_or_b32_e32 v11, v15, v11
	s_or_b64 s[16:17], s[4:5], s[16:17]
	v_or_b32_e32 v10, v14, v10
	s_andn2_b64 exec, exec, s[16:17]
	s_cbranch_execnz .LBB1_33
; %bb.34:                               ;   in Loop: Header=BB1_30 Depth=1
	s_or_b64 exec, exec, s[16:17]
.LBB1_35:                               ;   in Loop: Header=BB1_30 Depth=1
	s_or_b64 exec, exec, s[14:15]
	s_mov_b32 s14, 0
.LBB1_36:                               ;   in Loop: Header=BB1_30 Depth=1
	s_or_saveexec_b64 s[4:5], s[6:7]
	v_mov_b32_e32 v14, s14
	v_mov_b32_e32 v3, v5
	s_xor_b64 exec, exec, s[4:5]
	s_cbranch_execz .LBB1_38
; %bb.37:                               ;   in Loop: Header=BB1_30 Depth=1
	buffer_load_dword v3, v5, s[0:3], 0 offen offset:4
	buffer_load_dword v10, v5, s[0:3], 0 offen
	v_add_u32_e32 v14, -8, v50
	s_waitcnt vmcnt(1)
	v_and_b32_e32 v11, 0xff, v3
	v_and_b32_e32 v15, 0xff00, v3
	s_waitcnt vmcnt(0)
	v_or3_b32 v10, v10, 0, 0
	v_and_b32_e32 v18, 0xff0000, v3
	v_and_b32_e32 v3, 0xff000000, v3
	v_or3_b32 v11, 0, v11, v15
	v_or3_b32 v10, v10, 0, 0
	;; [unrolled: 1-line block ×3, first 2 shown]
	v_add_u32_e32 v3, 8, v5
.LBB1_38:                               ;   in Loop: Header=BB1_30 Depth=1
	s_or_b64 exec, exec, s[4:5]
	v_cmp_gt_u32_e64 s[4:5], 8, v14
                                        ; implicit-def: $vgpr18_vgpr19
                                        ; implicit-def: $sgpr14
	s_and_saveexec_b64 s[6:7], s[4:5]
	s_xor_b64 s[6:7], exec, s[6:7]
	s_cbranch_execz .LBB1_44
; %bb.39:                               ;   in Loop: Header=BB1_30 Depth=1
	v_cmp_ne_u32_e64 s[4:5], 0, v14
	v_pk_mov_b32 v[18:19], 0, 0
	s_and_saveexec_b64 s[14:15], s[4:5]
	s_cbranch_execz .LBB1_43
; %bb.40:                               ;   in Loop: Header=BB1_30 Depth=1
	s_mov_b32 s22, 0
	s_mov_b64 s[16:17], 0
	v_pk_mov_b32 v[18:19], 0, 0
	s_mov_b64 s[18:19], 0
.LBB1_41:                               ;   Parent Loop BB1_30 Depth=1
                                        ; =>  This Inner Loop Header: Depth=2
	v_add_u32_e32 v15, s22, v3
	buffer_load_ubyte v15, v15, s[0:3], 0 offen
	v_mov_b32_e32 v21, s20
	s_add_i32 s22, s22, 1
	v_cmp_eq_u32_e64 s[4:5], s22, v14
	s_waitcnt vmcnt(0)
	v_and_b32_e32 v20, 0xffff, v15
	v_lshlrev_b64 v[20:21], s18, v[20:21]
	s_add_u32 s18, s18, 8
	s_addc_u32 s19, s19, 0
	v_or_b32_e32 v19, v21, v19
	s_or_b64 s[16:17], s[4:5], s[16:17]
	v_or_b32_e32 v18, v20, v18
	s_andn2_b64 exec, exec, s[16:17]
	s_cbranch_execnz .LBB1_41
; %bb.42:                               ;   in Loop: Header=BB1_30 Depth=1
	s_or_b64 exec, exec, s[16:17]
.LBB1_43:                               ;   in Loop: Header=BB1_30 Depth=1
	s_or_b64 exec, exec, s[14:15]
	s_mov_b32 s14, 0
                                        ; implicit-def: $vgpr14
.LBB1_44:                               ;   in Loop: Header=BB1_30 Depth=1
	s_or_saveexec_b64 s[4:5], s[6:7]
	v_mov_b32_e32 v15, s14
	s_xor_b64 exec, exec, s[4:5]
	s_cbranch_execz .LBB1_46
; %bb.45:                               ;   in Loop: Header=BB1_30 Depth=1
	buffer_load_dword v18, v3, s[0:3], 0 offen offset:4
	buffer_load_dword v19, v3, s[0:3], 0 offen
	v_add_u32_e32 v15, -8, v14
	v_add_u32_e32 v3, 8, v3
	s_waitcnt vmcnt(1)
	v_and_b32_e32 v14, 0xff, v18
	v_and_b32_e32 v20, 0xff00, v18
	s_waitcnt vmcnt(0)
	v_or3_b32 v19, v19, 0, 0
	v_and_b32_e32 v21, 0xff0000, v18
	v_and_b32_e32 v22, 0xff000000, v18
	v_or3_b32 v14, 0, v14, v20
	v_or3_b32 v18, v19, 0, 0
	;; [unrolled: 1-line block ×3, first 2 shown]
.LBB1_46:                               ;   in Loop: Header=BB1_30 Depth=1
	s_or_b64 exec, exec, s[4:5]
	v_cmp_gt_u32_e64 s[4:5], 8, v15
                                        ; implicit-def: $sgpr14
	s_and_saveexec_b64 s[6:7], s[4:5]
	s_xor_b64 s[6:7], exec, s[6:7]
	s_cbranch_execz .LBB1_52
; %bb.47:                               ;   in Loop: Header=BB1_30 Depth=1
	v_cmp_ne_u32_e64 s[4:5], 0, v15
	v_pk_mov_b32 v[20:21], 0, 0
	s_and_saveexec_b64 s[14:15], s[4:5]
	s_cbranch_execz .LBB1_51
; %bb.48:                               ;   in Loop: Header=BB1_30 Depth=1
	s_mov_b32 s22, 0
	s_mov_b64 s[16:17], 0
	v_pk_mov_b32 v[20:21], 0, 0
	s_mov_b64 s[18:19], 0
.LBB1_49:                               ;   Parent Loop BB1_30 Depth=1
                                        ; =>  This Inner Loop Header: Depth=2
	v_add_u32_e32 v14, s22, v3
	buffer_load_ubyte v14, v14, s[0:3], 0 offen
	v_mov_b32_e32 v23, s20
	s_add_i32 s22, s22, 1
	v_cmp_eq_u32_e64 s[4:5], s22, v15
	s_waitcnt vmcnt(0)
	v_and_b32_e32 v22, 0xffff, v14
	v_lshlrev_b64 v[22:23], s18, v[22:23]
	s_add_u32 s18, s18, 8
	s_addc_u32 s19, s19, 0
	v_or_b32_e32 v21, v23, v21
	s_or_b64 s[16:17], s[4:5], s[16:17]
	v_or_b32_e32 v20, v22, v20
	s_andn2_b64 exec, exec, s[16:17]
	s_cbranch_execnz .LBB1_49
; %bb.50:                               ;   in Loop: Header=BB1_30 Depth=1
	s_or_b64 exec, exec, s[16:17]
.LBB1_51:                               ;   in Loop: Header=BB1_30 Depth=1
	s_or_b64 exec, exec, s[14:15]
	s_mov_b32 s14, 0
                                        ; implicit-def: $vgpr15
.LBB1_52:                               ;   in Loop: Header=BB1_30 Depth=1
	s_or_saveexec_b64 s[4:5], s[6:7]
	v_mov_b32_e32 v14, s14
	s_xor_b64 exec, exec, s[4:5]
	s_cbranch_execz .LBB1_54
; %bb.53:                               ;   in Loop: Header=BB1_30 Depth=1
	buffer_load_dword v20, v3, s[0:3], 0 offen offset:4
	buffer_load_dword v21, v3, s[0:3], 0 offen
	v_add_u32_e32 v14, -8, v15
	v_add_u32_e32 v3, 8, v3
	s_waitcnt vmcnt(1)
	v_and_b32_e32 v15, 0xff, v20
	v_and_b32_e32 v22, 0xff00, v20
	s_waitcnt vmcnt(0)
	v_or3_b32 v21, v21, 0, 0
	v_and_b32_e32 v23, 0xff0000, v20
	v_and_b32_e32 v24, 0xff000000, v20
	v_or3_b32 v15, 0, v15, v22
	v_or3_b32 v20, v21, 0, 0
	;; [unrolled: 1-line block ×3, first 2 shown]
.LBB1_54:                               ;   in Loop: Header=BB1_30 Depth=1
	s_or_b64 exec, exec, s[4:5]
	v_cmp_gt_u32_e64 s[4:5], 8, v14
                                        ; implicit-def: $vgpr22_vgpr23
                                        ; implicit-def: $sgpr14
	s_and_saveexec_b64 s[6:7], s[4:5]
	s_xor_b64 s[6:7], exec, s[6:7]
	s_cbranch_execz .LBB1_60
; %bb.55:                               ;   in Loop: Header=BB1_30 Depth=1
	v_cmp_ne_u32_e64 s[4:5], 0, v14
	v_pk_mov_b32 v[22:23], 0, 0
	s_and_saveexec_b64 s[14:15], s[4:5]
	s_cbranch_execz .LBB1_59
; %bb.56:                               ;   in Loop: Header=BB1_30 Depth=1
	s_mov_b32 s22, 0
	s_mov_b64 s[16:17], 0
	v_pk_mov_b32 v[22:23], 0, 0
	s_mov_b64 s[18:19], 0
.LBB1_57:                               ;   Parent Loop BB1_30 Depth=1
                                        ; =>  This Inner Loop Header: Depth=2
	v_add_u32_e32 v15, s22, v3
	buffer_load_ubyte v15, v15, s[0:3], 0 offen
	v_mov_b32_e32 v25, s20
	s_add_i32 s22, s22, 1
	v_cmp_eq_u32_e64 s[4:5], s22, v14
	s_waitcnt vmcnt(0)
	v_and_b32_e32 v24, 0xffff, v15
	v_lshlrev_b64 v[24:25], s18, v[24:25]
	s_add_u32 s18, s18, 8
	s_addc_u32 s19, s19, 0
	v_or_b32_e32 v23, v25, v23
	s_or_b64 s[16:17], s[4:5], s[16:17]
	v_or_b32_e32 v22, v24, v22
	s_andn2_b64 exec, exec, s[16:17]
	s_cbranch_execnz .LBB1_57
; %bb.58:                               ;   in Loop: Header=BB1_30 Depth=1
	s_or_b64 exec, exec, s[16:17]
.LBB1_59:                               ;   in Loop: Header=BB1_30 Depth=1
	s_or_b64 exec, exec, s[14:15]
	s_mov_b32 s14, 0
                                        ; implicit-def: $vgpr14
.LBB1_60:                               ;   in Loop: Header=BB1_30 Depth=1
	s_or_saveexec_b64 s[4:5], s[6:7]
	v_mov_b32_e32 v15, s14
	s_xor_b64 exec, exec, s[4:5]
	s_cbranch_execz .LBB1_62
; %bb.61:                               ;   in Loop: Header=BB1_30 Depth=1
	buffer_load_dword v22, v3, s[0:3], 0 offen offset:4
	buffer_load_dword v23, v3, s[0:3], 0 offen
	v_add_u32_e32 v15, -8, v14
	v_add_u32_e32 v3, 8, v3
	s_waitcnt vmcnt(1)
	v_and_b32_e32 v14, 0xff, v22
	v_and_b32_e32 v24, 0xff00, v22
	s_waitcnt vmcnt(0)
	v_or3_b32 v23, v23, 0, 0
	v_and_b32_e32 v25, 0xff0000, v22
	v_and_b32_e32 v26, 0xff000000, v22
	v_or3_b32 v14, 0, v14, v24
	v_or3_b32 v22, v23, 0, 0
	;; [unrolled: 1-line block ×3, first 2 shown]
.LBB1_62:                               ;   in Loop: Header=BB1_30 Depth=1
	s_or_b64 exec, exec, s[4:5]
	v_cmp_gt_u32_e64 s[4:5], 8, v15
                                        ; implicit-def: $sgpr14
	s_and_saveexec_b64 s[6:7], s[4:5]
	s_xor_b64 s[6:7], exec, s[6:7]
	s_cbranch_execz .LBB1_68
; %bb.63:                               ;   in Loop: Header=BB1_30 Depth=1
	v_cmp_ne_u32_e64 s[4:5], 0, v15
	v_pk_mov_b32 v[24:25], 0, 0
	s_and_saveexec_b64 s[14:15], s[4:5]
	s_cbranch_execz .LBB1_67
; %bb.64:                               ;   in Loop: Header=BB1_30 Depth=1
	s_mov_b32 s22, 0
	s_mov_b64 s[16:17], 0
	v_pk_mov_b32 v[24:25], 0, 0
	s_mov_b64 s[18:19], 0
.LBB1_65:                               ;   Parent Loop BB1_30 Depth=1
                                        ; =>  This Inner Loop Header: Depth=2
	v_add_u32_e32 v14, s22, v3
	buffer_load_ubyte v14, v14, s[0:3], 0 offen
	v_mov_b32_e32 v27, s20
	s_add_i32 s22, s22, 1
	v_cmp_eq_u32_e64 s[4:5], s22, v15
	s_waitcnt vmcnt(0)
	v_and_b32_e32 v26, 0xffff, v14
	v_lshlrev_b64 v[26:27], s18, v[26:27]
	s_add_u32 s18, s18, 8
	s_addc_u32 s19, s19, 0
	v_or_b32_e32 v25, v27, v25
	s_or_b64 s[16:17], s[4:5], s[16:17]
	v_or_b32_e32 v24, v26, v24
	s_andn2_b64 exec, exec, s[16:17]
	s_cbranch_execnz .LBB1_65
; %bb.66:                               ;   in Loop: Header=BB1_30 Depth=1
	s_or_b64 exec, exec, s[16:17]
.LBB1_67:                               ;   in Loop: Header=BB1_30 Depth=1
	s_or_b64 exec, exec, s[14:15]
	s_mov_b32 s14, 0
                                        ; implicit-def: $vgpr15
.LBB1_68:                               ;   in Loop: Header=BB1_30 Depth=1
	s_or_saveexec_b64 s[4:5], s[6:7]
	v_mov_b32_e32 v14, s14
	s_xor_b64 exec, exec, s[4:5]
	s_cbranch_execz .LBB1_70
; %bb.69:                               ;   in Loop: Header=BB1_30 Depth=1
	buffer_load_dword v24, v3, s[0:3], 0 offen offset:4
	buffer_load_dword v25, v3, s[0:3], 0 offen
	v_add_u32_e32 v14, -8, v15
	v_add_u32_e32 v3, 8, v3
	s_waitcnt vmcnt(1)
	v_and_b32_e32 v15, 0xff, v24
	v_and_b32_e32 v26, 0xff00, v24
	s_waitcnt vmcnt(0)
	v_or3_b32 v25, v25, 0, 0
	v_and_b32_e32 v27, 0xff0000, v24
	v_and_b32_e32 v28, 0xff000000, v24
	v_or3_b32 v15, 0, v15, v26
	v_or3_b32 v24, v25, 0, 0
	;; [unrolled: 1-line block ×3, first 2 shown]
.LBB1_70:                               ;   in Loop: Header=BB1_30 Depth=1
	s_or_b64 exec, exec, s[4:5]
	v_cmp_gt_u32_e64 s[4:5], 8, v14
                                        ; implicit-def: $vgpr26_vgpr27
                                        ; implicit-def: $sgpr14
	s_and_saveexec_b64 s[6:7], s[4:5]
	s_xor_b64 s[6:7], exec, s[6:7]
	s_cbranch_execz .LBB1_76
; %bb.71:                               ;   in Loop: Header=BB1_30 Depth=1
	v_cmp_ne_u32_e64 s[4:5], 0, v14
	v_pk_mov_b32 v[26:27], 0, 0
	s_and_saveexec_b64 s[14:15], s[4:5]
	s_cbranch_execz .LBB1_75
; %bb.72:                               ;   in Loop: Header=BB1_30 Depth=1
	s_mov_b32 s22, 0
	s_mov_b64 s[16:17], 0
	v_pk_mov_b32 v[26:27], 0, 0
	s_mov_b64 s[18:19], 0
.LBB1_73:                               ;   Parent Loop BB1_30 Depth=1
                                        ; =>  This Inner Loop Header: Depth=2
	v_add_u32_e32 v15, s22, v3
	buffer_load_ubyte v15, v15, s[0:3], 0 offen
	v_mov_b32_e32 v29, s20
	s_add_i32 s22, s22, 1
	v_cmp_eq_u32_e64 s[4:5], s22, v14
	s_waitcnt vmcnt(0)
	v_and_b32_e32 v28, 0xffff, v15
	v_lshlrev_b64 v[28:29], s18, v[28:29]
	s_add_u32 s18, s18, 8
	s_addc_u32 s19, s19, 0
	v_or_b32_e32 v27, v29, v27
	s_or_b64 s[16:17], s[4:5], s[16:17]
	v_or_b32_e32 v26, v28, v26
	s_andn2_b64 exec, exec, s[16:17]
	s_cbranch_execnz .LBB1_73
; %bb.74:                               ;   in Loop: Header=BB1_30 Depth=1
	s_or_b64 exec, exec, s[16:17]
.LBB1_75:                               ;   in Loop: Header=BB1_30 Depth=1
	s_or_b64 exec, exec, s[14:15]
	s_mov_b32 s14, 0
                                        ; implicit-def: $vgpr14
.LBB1_76:                               ;   in Loop: Header=BB1_30 Depth=1
	s_or_saveexec_b64 s[4:5], s[6:7]
	v_mov_b32_e32 v15, s14
	s_xor_b64 exec, exec, s[4:5]
	s_cbranch_execz .LBB1_78
; %bb.77:                               ;   in Loop: Header=BB1_30 Depth=1
	buffer_load_dword v26, v3, s[0:3], 0 offen offset:4
	buffer_load_dword v27, v3, s[0:3], 0 offen
	v_add_u32_e32 v15, -8, v14
	v_add_u32_e32 v3, 8, v3
	s_waitcnt vmcnt(1)
	v_and_b32_e32 v14, 0xff, v26
	v_and_b32_e32 v28, 0xff00, v26
	s_waitcnt vmcnt(0)
	v_or3_b32 v27, v27, 0, 0
	v_and_b32_e32 v29, 0xff0000, v26
	v_and_b32_e32 v30, 0xff000000, v26
	v_or3_b32 v14, 0, v14, v28
	v_or3_b32 v26, v27, 0, 0
	;; [unrolled: 1-line block ×3, first 2 shown]
.LBB1_78:                               ;   in Loop: Header=BB1_30 Depth=1
	s_or_b64 exec, exec, s[4:5]
	v_cmp_gt_u32_e64 s[4:5], 8, v15
	s_and_saveexec_b64 s[6:7], s[4:5]
	s_xor_b64 s[6:7], exec, s[6:7]
	s_cbranch_execz .LBB1_84
; %bb.79:                               ;   in Loop: Header=BB1_30 Depth=1
	v_cmp_ne_u32_e64 s[4:5], 0, v15
	v_pk_mov_b32 v[28:29], 0, 0
	s_and_saveexec_b64 s[14:15], s[4:5]
	s_cbranch_execz .LBB1_83
; %bb.80:                               ;   in Loop: Header=BB1_30 Depth=1
	s_mov_b64 s[16:17], 0
	v_pk_mov_b32 v[28:29], 0, 0
	s_mov_b64 s[18:19], 0
.LBB1_81:                               ;   Parent Loop BB1_30 Depth=1
                                        ; =>  This Inner Loop Header: Depth=2
	buffer_load_ubyte v14, v3, s[0:3], 0 offen
	v_mov_b32_e32 v31, s20
	v_add_u32_e32 v15, -1, v15
	v_cmp_eq_u32_e64 s[4:5], 0, v15
	v_add_u32_e32 v3, 1, v3
	s_waitcnt vmcnt(0)
	v_and_b32_e32 v30, 0xffff, v14
	v_lshlrev_b64 v[30:31], s18, v[30:31]
	s_add_u32 s18, s18, 8
	s_addc_u32 s19, s19, 0
	v_or_b32_e32 v29, v31, v29
	s_or_b64 s[16:17], s[4:5], s[16:17]
	v_or_b32_e32 v28, v30, v28
	s_andn2_b64 exec, exec, s[16:17]
	s_cbranch_execnz .LBB1_81
; %bb.82:                               ;   in Loop: Header=BB1_30 Depth=1
	s_or_b64 exec, exec, s[16:17]
.LBB1_83:                               ;   in Loop: Header=BB1_30 Depth=1
	s_or_b64 exec, exec, s[14:15]
                                        ; implicit-def: $vgpr3
.LBB1_84:                               ;   in Loop: Header=BB1_30 Depth=1
	s_andn2_saveexec_b64 s[4:5], s[6:7]
	s_cbranch_execz .LBB1_86
; %bb.85:                               ;   in Loop: Header=BB1_30 Depth=1
	buffer_load_dword v14, v3, s[0:3], 0 offen offset:4
	s_nop 0
	buffer_load_dword v3, v3, s[0:3], 0 offen
	s_waitcnt vmcnt(1)
	v_and_b32_e32 v15, 0xff, v14
	v_and_b32_e32 v28, 0xff00, v14
	s_waitcnt vmcnt(0)
	v_or3_b32 v3, v3, 0, 0
	v_and_b32_e32 v29, 0xff0000, v14
	v_and_b32_e32 v14, 0xff000000, v14
	v_or3_b32 v15, 0, v15, v28
	v_or3_b32 v29, v15, v29, v14
	;; [unrolled: 1-line block ×3, first 2 shown]
.LBB1_86:                               ;   in Loop: Header=BB1_30 Depth=1
	s_or_b64 exec, exec, s[4:5]
	v_readfirstlane_b32 s4, v49
	v_cmp_eq_u32_e64 s[4:5], s4, v49
	v_pk_mov_b32 v[14:15], 0, 0
	s_and_saveexec_b64 s[14:15], s[4:5]
	s_cbranch_execz .LBB1_92
; %bb.87:                               ;   in Loop: Header=BB1_30 Depth=1
	global_load_dwordx2 v[32:33], v35, s[10:11] offset:24 glc
	s_waitcnt vmcnt(0)
	buffer_invl2
	buffer_wbinvl1_vol
	global_load_dwordx2 v[14:15], v35, s[10:11] offset:40
	global_load_dwordx2 v[30:31], v35, s[10:11]
	s_waitcnt vmcnt(1)
	v_and_b32_e32 v3, v14, v32
	v_and_b32_e32 v14, v15, v33
	v_mul_lo_u32 v14, v14, 24
	v_mul_hi_u32 v15, v3, 24
	v_mul_lo_u32 v3, v3, 24
	v_add_u32_e32 v15, v15, v14
	s_waitcnt vmcnt(0)
	v_add_co_u32_e64 v14, s[6:7], v30, v3
	v_addc_co_u32_e64 v15, s[6:7], v31, v15, s[6:7]
	global_load_dwordx2 v[30:31], v[14:15], off glc
	s_waitcnt vmcnt(0)
	global_atomic_cmpswap_x2 v[14:15], v35, v[30:33], s[10:11] offset:24 glc
	s_waitcnt vmcnt(0)
	buffer_invl2
	buffer_wbinvl1_vol
	v_cmp_ne_u64_e64 s[6:7], v[14:15], v[32:33]
	s_and_saveexec_b64 s[16:17], s[6:7]
	s_cbranch_execz .LBB1_91
; %bb.88:                               ;   in Loop: Header=BB1_30 Depth=1
	s_mov_b64 s[18:19], 0
.LBB1_89:                               ;   Parent Loop BB1_30 Depth=1
                                        ; =>  This Inner Loop Header: Depth=2
	s_sleep 1
	global_load_dwordx2 v[30:31], v35, s[10:11] offset:40
	global_load_dwordx2 v[38:39], v35, s[10:11]
	v_pk_mov_b32 v[32:33], v[14:15], v[14:15] op_sel:[0,1]
	s_waitcnt vmcnt(1)
	v_and_b32_e32 v14, v30, v32
	s_waitcnt vmcnt(0)
	v_mad_u64_u32 v[14:15], s[6:7], v14, 24, v[38:39]
	v_and_b32_e32 v3, v31, v33
	v_mov_b32_e32 v30, v15
	v_mad_u64_u32 v[30:31], s[6:7], v3, 24, v[30:31]
	v_mov_b32_e32 v15, v30
	global_load_dwordx2 v[30:31], v[14:15], off glc
	s_waitcnt vmcnt(0)
	global_atomic_cmpswap_x2 v[14:15], v35, v[30:33], s[10:11] offset:24 glc
	s_waitcnt vmcnt(0)
	buffer_invl2
	buffer_wbinvl1_vol
	v_cmp_eq_u64_e64 s[6:7], v[14:15], v[32:33]
	s_or_b64 s[18:19], s[6:7], s[18:19]
	s_andn2_b64 exec, exec, s[18:19]
	s_cbranch_execnz .LBB1_89
; %bb.90:                               ;   in Loop: Header=BB1_30 Depth=1
	s_or_b64 exec, exec, s[18:19]
.LBB1_91:                               ;   in Loop: Header=BB1_30 Depth=1
	s_or_b64 exec, exec, s[16:17]
.LBB1_92:                               ;   in Loop: Header=BB1_30 Depth=1
	s_or_b64 exec, exec, s[14:15]
	global_load_dwordx2 v[38:39], v35, s[10:11] offset:40
	global_load_dwordx4 v[30:33], v35, s[10:11]
	v_readfirstlane_b32 s14, v14
	v_readfirstlane_b32 s15, v15
	s_mov_b64 s[16:17], exec
	s_waitcnt vmcnt(1)
	v_readfirstlane_b32 s6, v38
	v_readfirstlane_b32 s7, v39
	s_and_b64 s[18:19], s[14:15], s[6:7]
	s_mul_i32 s6, s19, 24
	s_mul_hi_u32 s7, s18, 24
	s_mul_i32 s22, s18, 24
	s_add_i32 s6, s7, s6
	v_mov_b32_e32 v3, s6
	s_waitcnt vmcnt(0)
	v_add_co_u32_e64 v38, s[6:7], s22, v30
	v_addc_co_u32_e64 v39, s[6:7], v31, v3, s[6:7]
	s_and_saveexec_b64 s[6:7], s[4:5]
	s_cbranch_execz .LBB1_94
; %bb.93:                               ;   in Loop: Header=BB1_30 Depth=1
	v_pk_mov_b32 v[14:15], s[16:17], s[16:17] op_sel:[0,1]
	global_store_dwordx4 v[38:39], v[14:17], off offset:8
.LBB1_94:                               ;   in Loop: Header=BB1_30 Depth=1
	s_or_b64 exec, exec, s[6:7]
	s_lshl_b64 s[6:7], s[18:19], 12
	v_cndmask_b32_e32 v15, 0, v1, vcc
	v_mov_b32_e32 v3, s7
	v_add_co_u32_e32 v14, vcc, s6, v32
	v_addc_co_u32_e32 v3, vcc, v33, v3, vcc
	v_or_b32_e32 v32, 0, v9
	v_cmp_lt_u64_e32 vcc, 56, v[0:1]
	v_or_b32_e32 v33, v8, v4
	v_cndmask_b32_e32 v9, v32, v9, vcc
	v_lshl_add_u32 v32, v50, 2, 28
	v_cndmask_b32_e32 v8, v33, v8, vcc
	v_and_b32_e32 v32, 0x1e0, v32
	v_and_or_b32 v8, v8, s21, v32
	v_readfirstlane_b32 s6, v14
	v_readfirstlane_b32 s7, v3
	s_nop 4
	global_store_dwordx4 v48, v[8:11], s[6:7]
	global_store_dwordx4 v48, v[18:21], s[6:7] offset:16
	global_store_dwordx4 v48, v[22:25], s[6:7] offset:32
	;; [unrolled: 1-line block ×3, first 2 shown]
	s_and_saveexec_b64 s[6:7], s[4:5]
	s_cbranch_execz .LBB1_102
; %bb.95:                               ;   in Loop: Header=BB1_30 Depth=1
	global_load_dwordx2 v[22:23], v35, s[10:11] offset:32 glc
	global_load_dwordx2 v[8:9], v35, s[10:11] offset:40
	v_mov_b32_e32 v20, s14
	v_mov_b32_e32 v21, s15
	s_waitcnt vmcnt(0)
	v_readfirstlane_b32 s16, v8
	v_readfirstlane_b32 s17, v9
	s_and_b64 s[16:17], s[16:17], s[14:15]
	s_mul_i32 s17, s17, 24
	s_mul_hi_u32 s18, s16, 24
	s_mul_i32 s16, s16, 24
	s_add_i32 s17, s18, s17
	v_mov_b32_e32 v8, s17
	v_add_co_u32_e32 v18, vcc, s16, v30
	v_addc_co_u32_e32 v19, vcc, v31, v8, vcc
	global_store_dwordx2 v[18:19], v[22:23], off
	buffer_wbl2
	s_waitcnt vmcnt(0)
	global_atomic_cmpswap_x2 v[10:11], v35, v[20:23], s[10:11] offset:32 glc
	s_waitcnt vmcnt(0)
	v_cmp_ne_u64_e32 vcc, v[10:11], v[22:23]
	s_and_saveexec_b64 s[16:17], vcc
	s_cbranch_execz .LBB1_98
; %bb.96:                               ;   in Loop: Header=BB1_30 Depth=1
	s_mov_b64 s[18:19], 0
.LBB1_97:                               ;   Parent Loop BB1_30 Depth=1
                                        ; =>  This Inner Loop Header: Depth=2
	s_sleep 1
	global_store_dwordx2 v[18:19], v[10:11], off
	v_mov_b32_e32 v8, s14
	v_mov_b32_e32 v9, s15
	buffer_wbl2
	s_waitcnt vmcnt(0)
	global_atomic_cmpswap_x2 v[8:9], v35, v[8:11], s[10:11] offset:32 glc
	s_waitcnt vmcnt(0)
	v_cmp_eq_u64_e32 vcc, v[8:9], v[10:11]
	s_or_b64 s[18:19], vcc, s[18:19]
	v_pk_mov_b32 v[10:11], v[8:9], v[8:9] op_sel:[0,1]
	s_andn2_b64 exec, exec, s[18:19]
	s_cbranch_execnz .LBB1_97
.LBB1_98:                               ;   in Loop: Header=BB1_30 Depth=1
	s_or_b64 exec, exec, s[16:17]
	global_load_dwordx2 v[8:9], v35, s[10:11] offset:16
	s_mov_b64 s[18:19], exec
	v_mbcnt_lo_u32_b32 v10, s18, 0
	v_mbcnt_hi_u32_b32 v10, s19, v10
	v_cmp_eq_u32_e32 vcc, 0, v10
	s_and_saveexec_b64 s[16:17], vcc
	s_cbranch_execz .LBB1_100
; %bb.99:                               ;   in Loop: Header=BB1_30 Depth=1
	s_bcnt1_i32_b64 s18, s[18:19]
	v_mov_b32_e32 v34, s18
	buffer_wbl2
	s_waitcnt vmcnt(0)
	global_atomic_add_x2 v[8:9], v[34:35], off offset:8
.LBB1_100:                              ;   in Loop: Header=BB1_30 Depth=1
	s_or_b64 exec, exec, s[16:17]
	s_waitcnt vmcnt(0)
	global_load_dwordx2 v[10:11], v[8:9], off offset:16
	s_waitcnt vmcnt(0)
	v_cmp_eq_u64_e32 vcc, 0, v[10:11]
	s_cbranch_vccnz .LBB1_102
; %bb.101:                              ;   in Loop: Header=BB1_30 Depth=1
	global_load_dword v34, v[8:9], off offset:24
	s_waitcnt vmcnt(0)
	v_and_b32_e32 v8, 0xffffff, v34
	v_readfirstlane_b32 m0, v8
	buffer_wbl2
	global_store_dwordx2 v[10:11], v[34:35], off
	s_sendmsg sendmsg(MSG_INTERRUPT)
.LBB1_102:                              ;   in Loop: Header=BB1_30 Depth=1
	s_or_b64 exec, exec, s[6:7]
	v_add_co_u32_e32 v8, vcc, v14, v48
	v_addc_co_u32_e32 v9, vcc, 0, v3, vcc
	s_branch .LBB1_106
.LBB1_103:                              ;   in Loop: Header=BB1_106 Depth=2
	s_or_b64 exec, exec, s[6:7]
	v_readfirstlane_b32 s6, v3
	s_cmp_eq_u32 s6, 0
	s_cbranch_scc1 .LBB1_105
; %bb.104:                              ;   in Loop: Header=BB1_106 Depth=2
	s_sleep 1
	s_cbranch_execnz .LBB1_106
	s_branch .LBB1_108
.LBB1_105:                              ;   in Loop: Header=BB1_30 Depth=1
	s_branch .LBB1_108
.LBB1_106:                              ;   Parent Loop BB1_30 Depth=1
                                        ; =>  This Inner Loop Header: Depth=2
	v_mov_b32_e32 v3, 1
	s_and_saveexec_b64 s[6:7], s[4:5]
	s_cbranch_execz .LBB1_103
; %bb.107:                              ;   in Loop: Header=BB1_106 Depth=2
	global_load_dword v3, v[38:39], off offset:20 glc
	s_waitcnt vmcnt(0)
	buffer_invl2
	buffer_wbinvl1_vol
	v_and_b32_e32 v3, 1, v3
	s_branch .LBB1_103
.LBB1_108:                              ;   in Loop: Header=BB1_30 Depth=1
	global_load_dwordx4 v[8:11], v[8:9], off
	s_and_saveexec_b64 s[6:7], s[4:5]
	s_cbranch_execz .LBB1_29
; %bb.109:                              ;   in Loop: Header=BB1_30 Depth=1
	global_load_dwordx2 v[10:11], v35, s[10:11] offset:40
	global_load_dwordx2 v[22:23], v35, s[10:11] offset:24 glc
	global_load_dwordx2 v[24:25], v35, s[10:11]
	v_mov_b32_e32 v3, s15
	s_waitcnt vmcnt(2)
	v_add_co_u32_e32 v14, vcc, 1, v10
	v_addc_co_u32_e32 v21, vcc, 0, v11, vcc
	v_add_co_u32_e32 v18, vcc, s14, v14
	v_addc_co_u32_e32 v19, vcc, v21, v3, vcc
	v_cmp_eq_u64_e32 vcc, 0, v[18:19]
	v_cndmask_b32_e32 v19, v19, v21, vcc
	v_cndmask_b32_e32 v18, v18, v14, vcc
	v_and_b32_e32 v3, v19, v11
	v_and_b32_e32 v10, v18, v10
	v_mul_lo_u32 v3, v3, 24
	v_mul_hi_u32 v11, v10, 24
	v_mul_lo_u32 v10, v10, 24
	v_add_u32_e32 v3, v11, v3
	s_waitcnt vmcnt(0)
	v_add_co_u32_e32 v10, vcc, v24, v10
	v_addc_co_u32_e32 v11, vcc, v25, v3, vcc
	v_mov_b32_e32 v20, v22
	global_store_dwordx2 v[10:11], v[22:23], off
	v_mov_b32_e32 v21, v23
	buffer_wbl2
	s_waitcnt vmcnt(0)
	global_atomic_cmpswap_x2 v[20:21], v35, v[18:21], s[10:11] offset:24 glc
	s_waitcnt vmcnt(0)
	v_cmp_ne_u64_e32 vcc, v[20:21], v[22:23]
	s_and_b64 exec, exec, vcc
	s_cbranch_execz .LBB1_29
; %bb.110:                              ;   in Loop: Header=BB1_30 Depth=1
	s_mov_b64 s[4:5], 0
.LBB1_111:                              ;   Parent Loop BB1_30 Depth=1
                                        ; =>  This Inner Loop Header: Depth=2
	s_sleep 1
	global_store_dwordx2 v[10:11], v[20:21], off
	buffer_wbl2
	s_waitcnt vmcnt(0)
	global_atomic_cmpswap_x2 v[22:23], v35, v[18:21], s[10:11] offset:24 glc
	s_waitcnt vmcnt(0)
	v_cmp_eq_u64_e32 vcc, v[22:23], v[20:21]
	s_or_b64 s[4:5], vcc, s[4:5]
	v_pk_mov_b32 v[20:21], v[22:23], v[22:23] op_sel:[0,1]
	s_andn2_b64 exec, exec, s[4:5]
	s_cbranch_execnz .LBB1_111
	s_branch .LBB1_29
.LBB1_112:
                                        ; implicit-def: $vgpr8_vgpr9
	s_cbranch_execnz .LBB1_114
	s_branch .LBB1_140
.LBB1_113:
	s_or_b64 exec, exec, s[12:13]
	s_branch .LBB1_140
.LBB1_114:
	v_readfirstlane_b32 s4, v49
	v_cmp_eq_u32_e64 s[4:5], s4, v49
	v_pk_mov_b32 v[0:1], 0, 0
	s_and_saveexec_b64 s[6:7], s[4:5]
	s_cbranch_execz .LBB1_120
; %bb.115:
	v_mov_b32_e32 v3, 0
	global_load_dwordx2 v[10:11], v3, s[10:11] offset:24 glc
	s_waitcnt vmcnt(0)
	buffer_invl2
	buffer_wbinvl1_vol
	global_load_dwordx2 v[0:1], v3, s[10:11] offset:40
	global_load_dwordx2 v[4:5], v3, s[10:11]
	s_waitcnt vmcnt(1)
	v_and_b32_e32 v0, v0, v10
	v_and_b32_e32 v1, v1, v11
	v_mul_lo_u32 v1, v1, 24
	v_mul_hi_u32 v8, v0, 24
	v_mul_lo_u32 v0, v0, 24
	v_add_u32_e32 v1, v8, v1
	s_waitcnt vmcnt(0)
	v_add_co_u32_e32 v0, vcc, v4, v0
	v_addc_co_u32_e32 v1, vcc, v5, v1, vcc
	global_load_dwordx2 v[8:9], v[0:1], off glc
	s_waitcnt vmcnt(0)
	global_atomic_cmpswap_x2 v[0:1], v3, v[8:11], s[10:11] offset:24 glc
	s_waitcnt vmcnt(0)
	buffer_invl2
	buffer_wbinvl1_vol
	v_cmp_ne_u64_e32 vcc, v[0:1], v[10:11]
	s_and_saveexec_b64 s[12:13], vcc
	s_cbranch_execz .LBB1_119
; %bb.116:
	s_mov_b64 s[14:15], 0
.LBB1_117:                              ; =>This Inner Loop Header: Depth=1
	s_sleep 1
	global_load_dwordx2 v[4:5], v3, s[10:11] offset:40
	global_load_dwordx2 v[8:9], v3, s[10:11]
	v_pk_mov_b32 v[10:11], v[0:1], v[0:1] op_sel:[0,1]
	s_waitcnt vmcnt(1)
	v_and_b32_e32 v0, v4, v10
	s_waitcnt vmcnt(0)
	v_mad_u64_u32 v[0:1], s[16:17], v0, 24, v[8:9]
	v_and_b32_e32 v5, v5, v11
	v_mov_b32_e32 v4, v1
	v_mad_u64_u32 v[4:5], s[16:17], v5, 24, v[4:5]
	v_mov_b32_e32 v1, v4
	global_load_dwordx2 v[8:9], v[0:1], off glc
	s_waitcnt vmcnt(0)
	global_atomic_cmpswap_x2 v[0:1], v3, v[8:11], s[10:11] offset:24 glc
	s_waitcnt vmcnt(0)
	buffer_invl2
	buffer_wbinvl1_vol
	v_cmp_eq_u64_e32 vcc, v[0:1], v[10:11]
	s_or_b64 s[14:15], vcc, s[14:15]
	s_andn2_b64 exec, exec, s[14:15]
	s_cbranch_execnz .LBB1_117
; %bb.118:
	s_or_b64 exec, exec, s[14:15]
.LBB1_119:
	s_or_b64 exec, exec, s[12:13]
.LBB1_120:
	s_or_b64 exec, exec, s[6:7]
	v_mov_b32_e32 v14, 0
	global_load_dwordx2 v[4:5], v14, s[10:11] offset:40
	global_load_dwordx4 v[8:11], v14, s[10:11]
	v_readfirstlane_b32 s6, v0
	v_readfirstlane_b32 s7, v1
	s_mov_b64 s[12:13], exec
	s_waitcnt vmcnt(1)
	v_readfirstlane_b32 s14, v4
	v_readfirstlane_b32 s15, v5
	s_and_b64 s[14:15], s[6:7], s[14:15]
	s_mul_i32 s16, s15, 24
	s_mul_hi_u32 s17, s14, 24
	s_mul_i32 s18, s14, 24
	s_add_i32 s16, s17, s16
	v_mov_b32_e32 v1, s16
	s_waitcnt vmcnt(0)
	v_add_co_u32_e32 v0, vcc, s18, v8
	v_addc_co_u32_e32 v1, vcc, v9, v1, vcc
	s_and_saveexec_b64 s[16:17], s[4:5]
	s_cbranch_execz .LBB1_122
; %bb.121:
	v_pk_mov_b32 v[16:17], s[12:13], s[12:13] op_sel:[0,1]
	v_mov_b32_e32 v18, 2
	v_mov_b32_e32 v19, 1
	global_store_dwordx4 v[0:1], v[16:19], off offset:8
.LBB1_122:
	s_or_b64 exec, exec, s[16:17]
	s_lshl_b64 s[12:13], s[14:15], 12
	v_mov_b32_e32 v3, s13
	v_add_co_u32_e32 v10, vcc, s12, v10
	s_movk_i32 s12, 0xff1f
	v_addc_co_u32_e32 v3, vcc, v11, v3, vcc
	v_and_or_b32 v12, v12, s12, 32
	s_mov_b32 s12, 0
	v_mov_b32_e32 v15, v14
	v_readfirstlane_b32 s16, v10
	v_readfirstlane_b32 s17, v3
	s_mov_b32 s13, s12
	v_add_co_u32_e32 v4, vcc, v10, v48
	s_mov_b32 s14, s12
	s_mov_b32 s15, s12
	s_nop 0
	global_store_dwordx4 v48, v[12:15], s[16:17]
	v_pk_mov_b32 v[10:11], s[12:13], s[12:13] op_sel:[0,1]
	v_addc_co_u32_e32 v5, vcc, 0, v3, vcc
	v_pk_mov_b32 v[12:13], s[14:15], s[14:15] op_sel:[0,1]
	global_store_dwordx4 v48, v[10:13], s[16:17] offset:16
	global_store_dwordx4 v48, v[10:13], s[16:17] offset:32
	;; [unrolled: 1-line block ×3, first 2 shown]
	s_and_saveexec_b64 s[12:13], s[4:5]
	s_cbranch_execz .LBB1_130
; %bb.123:
	v_mov_b32_e32 v3, 0
	global_load_dwordx2 v[16:17], v3, s[10:11] offset:32 glc
	global_load_dwordx2 v[10:11], v3, s[10:11] offset:40
	v_mov_b32_e32 v14, s6
	v_mov_b32_e32 v15, s7
	s_waitcnt vmcnt(0)
	v_readfirstlane_b32 s14, v10
	v_readfirstlane_b32 s15, v11
	s_and_b64 s[14:15], s[14:15], s[6:7]
	s_mul_i32 s15, s15, 24
	s_mul_hi_u32 s16, s14, 24
	s_mul_i32 s14, s14, 24
	s_add_i32 s15, s16, s15
	v_mov_b32_e32 v10, s15
	v_add_co_u32_e32 v12, vcc, s14, v8
	v_addc_co_u32_e32 v13, vcc, v9, v10, vcc
	global_store_dwordx2 v[12:13], v[16:17], off
	buffer_wbl2
	s_waitcnt vmcnt(0)
	global_atomic_cmpswap_x2 v[10:11], v3, v[14:17], s[10:11] offset:32 glc
	s_waitcnt vmcnt(0)
	v_cmp_ne_u64_e32 vcc, v[10:11], v[16:17]
	s_and_saveexec_b64 s[14:15], vcc
	s_cbranch_execz .LBB1_126
; %bb.124:
	s_mov_b64 s[16:17], 0
.LBB1_125:                              ; =>This Inner Loop Header: Depth=1
	s_sleep 1
	global_store_dwordx2 v[12:13], v[10:11], off
	v_mov_b32_e32 v8, s6
	v_mov_b32_e32 v9, s7
	buffer_wbl2
	s_waitcnt vmcnt(0)
	global_atomic_cmpswap_x2 v[8:9], v3, v[8:11], s[10:11] offset:32 glc
	s_waitcnt vmcnt(0)
	v_cmp_eq_u64_e32 vcc, v[8:9], v[10:11]
	s_or_b64 s[16:17], vcc, s[16:17]
	v_pk_mov_b32 v[10:11], v[8:9], v[8:9] op_sel:[0,1]
	s_andn2_b64 exec, exec, s[16:17]
	s_cbranch_execnz .LBB1_125
.LBB1_126:
	s_or_b64 exec, exec, s[14:15]
	v_mov_b32_e32 v11, 0
	global_load_dwordx2 v[8:9], v11, s[10:11] offset:16
	s_mov_b64 s[14:15], exec
	v_mbcnt_lo_u32_b32 v3, s14, 0
	v_mbcnt_hi_u32_b32 v3, s15, v3
	v_cmp_eq_u32_e32 vcc, 0, v3
	s_and_saveexec_b64 s[16:17], vcc
	s_cbranch_execz .LBB1_128
; %bb.127:
	s_bcnt1_i32_b64 s14, s[14:15]
	v_mov_b32_e32 v10, s14
	buffer_wbl2
	s_waitcnt vmcnt(0)
	global_atomic_add_x2 v[8:9], v[10:11], off offset:8
.LBB1_128:
	s_or_b64 exec, exec, s[16:17]
	s_waitcnt vmcnt(0)
	global_load_dwordx2 v[10:11], v[8:9], off offset:16
	s_waitcnt vmcnt(0)
	v_cmp_eq_u64_e32 vcc, 0, v[10:11]
	s_cbranch_vccnz .LBB1_130
; %bb.129:
	global_load_dword v8, v[8:9], off offset:24
	v_mov_b32_e32 v9, 0
	s_waitcnt vmcnt(0)
	v_and_b32_e32 v3, 0xffffff, v8
	v_readfirstlane_b32 m0, v3
	buffer_wbl2
	global_store_dwordx2 v[10:11], v[8:9], off
	s_sendmsg sendmsg(MSG_INTERRUPT)
.LBB1_130:
	s_or_b64 exec, exec, s[12:13]
	s_branch .LBB1_134
.LBB1_131:                              ;   in Loop: Header=BB1_134 Depth=1
	s_or_b64 exec, exec, s[12:13]
	v_readfirstlane_b32 s12, v3
	s_cmp_eq_u32 s12, 0
	s_cbranch_scc1 .LBB1_133
; %bb.132:                              ;   in Loop: Header=BB1_134 Depth=1
	s_sleep 1
	s_cbranch_execnz .LBB1_134
	s_branch .LBB1_136
.LBB1_133:
	s_branch .LBB1_136
.LBB1_134:                              ; =>This Inner Loop Header: Depth=1
	v_mov_b32_e32 v3, 1
	s_and_saveexec_b64 s[12:13], s[4:5]
	s_cbranch_execz .LBB1_131
; %bb.135:                              ;   in Loop: Header=BB1_134 Depth=1
	global_load_dword v3, v[0:1], off offset:20 glc
	s_waitcnt vmcnt(0)
	buffer_invl2
	buffer_wbinvl1_vol
	v_and_b32_e32 v3, 1, v3
	s_branch .LBB1_131
.LBB1_136:
	global_load_dwordx2 v[8:9], v[4:5], off
	s_and_saveexec_b64 s[12:13], s[4:5]
	s_cbranch_execz .LBB1_139
; %bb.137:
	v_mov_b32_e32 v3, 0
	global_load_dwordx2 v[0:1], v3, s[10:11] offset:40
	global_load_dwordx2 v[4:5], v3, s[10:11] offset:24 glc
	global_load_dwordx2 v[14:15], v3, s[10:11]
	v_mov_b32_e32 v11, s7
	s_mov_b64 s[4:5], 0
	s_waitcnt vmcnt(2)
	v_add_co_u32_e32 v13, vcc, 1, v0
	v_addc_co_u32_e32 v16, vcc, 0, v1, vcc
	v_add_co_u32_e32 v10, vcc, s6, v13
	v_addc_co_u32_e32 v11, vcc, v16, v11, vcc
	v_cmp_eq_u64_e32 vcc, 0, v[10:11]
	v_cndmask_b32_e32 v11, v11, v16, vcc
	v_cndmask_b32_e32 v10, v10, v13, vcc
	v_and_b32_e32 v1, v11, v1
	v_and_b32_e32 v0, v10, v0
	v_mul_lo_u32 v1, v1, 24
	v_mul_hi_u32 v13, v0, 24
	v_mul_lo_u32 v0, v0, 24
	v_add_u32_e32 v1, v13, v1
	s_waitcnt vmcnt(0)
	v_add_co_u32_e32 v0, vcc, v14, v0
	v_addc_co_u32_e32 v1, vcc, v15, v1, vcc
	v_mov_b32_e32 v12, v4
	global_store_dwordx2 v[0:1], v[4:5], off
	v_mov_b32_e32 v13, v5
	buffer_wbl2
	s_waitcnt vmcnt(0)
	global_atomic_cmpswap_x2 v[12:13], v3, v[10:13], s[10:11] offset:24 glc
	s_waitcnt vmcnt(0)
	v_cmp_ne_u64_e32 vcc, v[12:13], v[4:5]
	s_and_b64 exec, exec, vcc
	s_cbranch_execz .LBB1_139
.LBB1_138:                              ; =>This Inner Loop Header: Depth=1
	s_sleep 1
	global_store_dwordx2 v[0:1], v[12:13], off
	buffer_wbl2
	s_waitcnt vmcnt(0)
	global_atomic_cmpswap_x2 v[4:5], v3, v[10:13], s[10:11] offset:24 glc
	s_waitcnt vmcnt(0)
	v_cmp_eq_u64_e32 vcc, v[4:5], v[12:13]
	s_or_b64 s[4:5], vcc, s[4:5]
	v_pk_mov_b32 v[12:13], v[4:5], v[4:5] op_sel:[0,1]
	s_andn2_b64 exec, exec, s[4:5]
	s_cbranch_execnz .LBB1_138
.LBB1_139:
	s_or_b64 exec, exec, s[12:13]
.LBB1_140:
	v_mov_b32_e32 v0, 0
	s_getpc_b64 s[4:5]
	s_add_u32 s4, s4, .str.1@rel32@lo+4
	s_addc_u32 s5, s5, .str.1@rel32@hi+12
.LBB1_141:                              ; =>This Inner Loop Header: Depth=1
	global_load_ubyte v1, v0, s[4:5]
	s_add_u32 s12, s4, 1
	s_addc_u32 s13, s5, 0
	s_mov_b64 s[4:5], s[12:13]
	s_waitcnt vmcnt(0)
	v_cmp_ne_u16_e32 vcc, 0, v1
	s_cbranch_vccnz .LBB1_141
; %bb.142:
	s_getpc_b64 s[6:7]
	s_add_u32 s6, s6, .str.1@rel32@lo+4
	s_addc_u32 s7, s7, .str.1@rel32@hi+12
	s_cmp_lg_u64 s[6:7], 0
	s_cbranch_scc0 .LBB1_226
; %bb.143:
	s_sub_i32 s12, s12, s6
	s_ashr_i32 s13, s12, 31
	v_and_b32_e32 v0, 2, v8
	v_mov_b32_e32 v5, 0
	v_and_b32_e32 v10, -3, v8
	v_mov_b32_e32 v11, v9
	v_mov_b32_e32 v14, 2
	;; [unrolled: 1-line block ×3, first 2 shown]
	s_branch .LBB1_145
.LBB1_144:                              ;   in Loop: Header=BB1_145 Depth=1
	s_or_b64 exec, exec, s[18:19]
	s_sub_u32 s12, s12, s14
	s_subb_u32 s13, s13, s15
	s_add_u32 s6, s6, s14
	s_addc_u32 s7, s7, s15
	s_cmp_lg_u64 s[12:13], 0
	s_cbranch_scc0 .LBB1_227
.LBB1_145:                              ; =>This Loop Header: Depth=1
                                        ;     Child Loop BB1_148 Depth 2
                                        ;     Child Loop BB1_155 Depth 2
	;; [unrolled: 1-line block ×11, first 2 shown]
	v_cmp_lt_u64_e64 s[4:5], s[12:13], 56
	s_and_b64 s[4:5], s[4:5], exec
	v_cmp_gt_u64_e64 s[4:5], s[12:13], 7
	s_cselect_b32 s15, s13, 0
	s_cselect_b32 s14, s12, 56
	s_and_b64 vcc, exec, s[4:5]
	s_cbranch_vccnz .LBB1_150
; %bb.146:                              ;   in Loop: Header=BB1_145 Depth=1
	s_mov_b64 s[4:5], 0
	s_cmp_eq_u64 s[12:13], 0
	v_pk_mov_b32 v[18:19], 0, 0
	s_cbranch_scc1 .LBB1_149
; %bb.147:                              ;   in Loop: Header=BB1_145 Depth=1
	s_lshl_b64 s[16:17], s[14:15], 3
	s_mov_b64 s[18:19], 0
	v_pk_mov_b32 v[18:19], 0, 0
	s_mov_b64 s[20:21], s[6:7]
.LBB1_148:                              ;   Parent Loop BB1_145 Depth=1
                                        ; =>  This Inner Loop Header: Depth=2
	global_load_ubyte v1, v5, s[20:21]
	s_waitcnt vmcnt(0)
	v_and_b32_e32 v4, 0xffff, v1
	v_lshlrev_b64 v[12:13], s18, v[4:5]
	s_add_u32 s18, s18, 8
	s_addc_u32 s19, s19, 0
	s_add_u32 s20, s20, 1
	s_addc_u32 s21, s21, 0
	v_or_b32_e32 v18, v12, v18
	s_cmp_lg_u32 s16, s18
	v_or_b32_e32 v19, v13, v19
	s_cbranch_scc1 .LBB1_148
.LBB1_149:                              ;   in Loop: Header=BB1_145 Depth=1
	s_mov_b32 s20, 0
	s_andn2_b64 vcc, exec, s[4:5]
	s_mov_b64 s[4:5], s[6:7]
	s_cbranch_vccz .LBB1_151
	s_branch .LBB1_152
.LBB1_150:                              ;   in Loop: Header=BB1_145 Depth=1
                                        ; implicit-def: $vgpr18_vgpr19
                                        ; implicit-def: $sgpr20
	s_mov_b64 s[4:5], s[6:7]
.LBB1_151:                              ;   in Loop: Header=BB1_145 Depth=1
	global_load_dwordx2 v[18:19], v5, s[6:7]
	s_add_i32 s20, s14, -8
	s_add_u32 s4, s6, 8
	s_addc_u32 s5, s7, 0
.LBB1_152:                              ;   in Loop: Header=BB1_145 Depth=1
	s_cmp_gt_u32 s20, 7
	s_cbranch_scc1 .LBB1_156
; %bb.153:                              ;   in Loop: Header=BB1_145 Depth=1
	s_cmp_eq_u32 s20, 0
	s_cbranch_scc1 .LBB1_157
; %bb.154:                              ;   in Loop: Header=BB1_145 Depth=1
	s_mov_b64 s[16:17], 0
	v_pk_mov_b32 v[20:21], 0, 0
	s_mov_b64 s[18:19], 0
.LBB1_155:                              ;   Parent Loop BB1_145 Depth=1
                                        ; =>  This Inner Loop Header: Depth=2
	s_add_u32 s22, s4, s18
	s_addc_u32 s23, s5, s19
	global_load_ubyte v1, v5, s[22:23]
	s_add_u32 s18, s18, 1
	s_addc_u32 s19, s19, 0
	s_waitcnt vmcnt(0)
	v_and_b32_e32 v4, 0xffff, v1
	v_lshlrev_b64 v[12:13], s16, v[4:5]
	s_add_u32 s16, s16, 8
	s_addc_u32 s17, s17, 0
	v_or_b32_e32 v20, v12, v20
	s_cmp_lg_u32 s20, s18
	v_or_b32_e32 v21, v13, v21
	s_cbranch_scc1 .LBB1_155
	s_branch .LBB1_158
.LBB1_156:                              ;   in Loop: Header=BB1_145 Depth=1
                                        ; implicit-def: $vgpr20_vgpr21
                                        ; implicit-def: $sgpr21
	s_branch .LBB1_159
.LBB1_157:                              ;   in Loop: Header=BB1_145 Depth=1
	v_pk_mov_b32 v[20:21], 0, 0
.LBB1_158:                              ;   in Loop: Header=BB1_145 Depth=1
	s_mov_b32 s21, 0
	s_cbranch_execnz .LBB1_160
.LBB1_159:                              ;   in Loop: Header=BB1_145 Depth=1
	global_load_dwordx2 v[20:21], v5, s[4:5]
	s_add_i32 s21, s20, -8
	s_add_u32 s4, s4, 8
	s_addc_u32 s5, s5, 0
.LBB1_160:                              ;   in Loop: Header=BB1_145 Depth=1
	s_cmp_gt_u32 s21, 7
	s_cbranch_scc1 .LBB1_164
; %bb.161:                              ;   in Loop: Header=BB1_145 Depth=1
	s_cmp_eq_u32 s21, 0
	s_cbranch_scc1 .LBB1_165
; %bb.162:                              ;   in Loop: Header=BB1_145 Depth=1
	s_mov_b64 s[16:17], 0
	v_pk_mov_b32 v[22:23], 0, 0
	s_mov_b64 s[18:19], 0
.LBB1_163:                              ;   Parent Loop BB1_145 Depth=1
                                        ; =>  This Inner Loop Header: Depth=2
	s_add_u32 s22, s4, s18
	s_addc_u32 s23, s5, s19
	global_load_ubyte v1, v5, s[22:23]
	s_add_u32 s18, s18, 1
	s_addc_u32 s19, s19, 0
	s_waitcnt vmcnt(0)
	v_and_b32_e32 v4, 0xffff, v1
	v_lshlrev_b64 v[12:13], s16, v[4:5]
	s_add_u32 s16, s16, 8
	s_addc_u32 s17, s17, 0
	v_or_b32_e32 v22, v12, v22
	s_cmp_lg_u32 s21, s18
	v_or_b32_e32 v23, v13, v23
	s_cbranch_scc1 .LBB1_163
	s_branch .LBB1_166
.LBB1_164:                              ;   in Loop: Header=BB1_145 Depth=1
                                        ; implicit-def: $sgpr20
	s_branch .LBB1_167
.LBB1_165:                              ;   in Loop: Header=BB1_145 Depth=1
	v_pk_mov_b32 v[22:23], 0, 0
.LBB1_166:                              ;   in Loop: Header=BB1_145 Depth=1
	s_mov_b32 s20, 0
	s_cbranch_execnz .LBB1_168
.LBB1_167:                              ;   in Loop: Header=BB1_145 Depth=1
	global_load_dwordx2 v[22:23], v5, s[4:5]
	s_add_i32 s20, s21, -8
	s_add_u32 s4, s4, 8
	s_addc_u32 s5, s5, 0
.LBB1_168:                              ;   in Loop: Header=BB1_145 Depth=1
	s_cmp_gt_u32 s20, 7
	s_cbranch_scc1 .LBB1_172
; %bb.169:                              ;   in Loop: Header=BB1_145 Depth=1
	s_cmp_eq_u32 s20, 0
	s_cbranch_scc1 .LBB1_173
; %bb.170:                              ;   in Loop: Header=BB1_145 Depth=1
	s_mov_b64 s[16:17], 0
	v_pk_mov_b32 v[24:25], 0, 0
	s_mov_b64 s[18:19], 0
.LBB1_171:                              ;   Parent Loop BB1_145 Depth=1
                                        ; =>  This Inner Loop Header: Depth=2
	s_add_u32 s22, s4, s18
	s_addc_u32 s23, s5, s19
	global_load_ubyte v1, v5, s[22:23]
	s_add_u32 s18, s18, 1
	s_addc_u32 s19, s19, 0
	s_waitcnt vmcnt(0)
	v_and_b32_e32 v4, 0xffff, v1
	v_lshlrev_b64 v[12:13], s16, v[4:5]
	s_add_u32 s16, s16, 8
	s_addc_u32 s17, s17, 0
	v_or_b32_e32 v24, v12, v24
	s_cmp_lg_u32 s20, s18
	v_or_b32_e32 v25, v13, v25
	s_cbranch_scc1 .LBB1_171
	s_branch .LBB1_174
.LBB1_172:                              ;   in Loop: Header=BB1_145 Depth=1
                                        ; implicit-def: $vgpr24_vgpr25
                                        ; implicit-def: $sgpr21
	s_branch .LBB1_175
.LBB1_173:                              ;   in Loop: Header=BB1_145 Depth=1
	v_pk_mov_b32 v[24:25], 0, 0
.LBB1_174:                              ;   in Loop: Header=BB1_145 Depth=1
	s_mov_b32 s21, 0
	s_cbranch_execnz .LBB1_176
.LBB1_175:                              ;   in Loop: Header=BB1_145 Depth=1
	global_load_dwordx2 v[24:25], v5, s[4:5]
	s_add_i32 s21, s20, -8
	s_add_u32 s4, s4, 8
	s_addc_u32 s5, s5, 0
.LBB1_176:                              ;   in Loop: Header=BB1_145 Depth=1
	s_cmp_gt_u32 s21, 7
	s_cbranch_scc1 .LBB1_180
; %bb.177:                              ;   in Loop: Header=BB1_145 Depth=1
	s_cmp_eq_u32 s21, 0
	s_cbranch_scc1 .LBB1_181
; %bb.178:                              ;   in Loop: Header=BB1_145 Depth=1
	s_mov_b64 s[16:17], 0
	v_pk_mov_b32 v[26:27], 0, 0
	s_mov_b64 s[18:19], 0
.LBB1_179:                              ;   Parent Loop BB1_145 Depth=1
                                        ; =>  This Inner Loop Header: Depth=2
	s_add_u32 s22, s4, s18
	s_addc_u32 s23, s5, s19
	global_load_ubyte v1, v5, s[22:23]
	s_add_u32 s18, s18, 1
	s_addc_u32 s19, s19, 0
	s_waitcnt vmcnt(0)
	v_and_b32_e32 v4, 0xffff, v1
	v_lshlrev_b64 v[12:13], s16, v[4:5]
	s_add_u32 s16, s16, 8
	s_addc_u32 s17, s17, 0
	v_or_b32_e32 v26, v12, v26
	s_cmp_lg_u32 s21, s18
	v_or_b32_e32 v27, v13, v27
	s_cbranch_scc1 .LBB1_179
	s_branch .LBB1_182
.LBB1_180:                              ;   in Loop: Header=BB1_145 Depth=1
                                        ; implicit-def: $sgpr20
	s_branch .LBB1_183
.LBB1_181:                              ;   in Loop: Header=BB1_145 Depth=1
	v_pk_mov_b32 v[26:27], 0, 0
.LBB1_182:                              ;   in Loop: Header=BB1_145 Depth=1
	s_mov_b32 s20, 0
	s_cbranch_execnz .LBB1_184
.LBB1_183:                              ;   in Loop: Header=BB1_145 Depth=1
	global_load_dwordx2 v[26:27], v5, s[4:5]
	s_add_i32 s20, s21, -8
	s_add_u32 s4, s4, 8
	s_addc_u32 s5, s5, 0
.LBB1_184:                              ;   in Loop: Header=BB1_145 Depth=1
	s_cmp_gt_u32 s20, 7
	s_cbranch_scc1 .LBB1_188
; %bb.185:                              ;   in Loop: Header=BB1_145 Depth=1
	s_cmp_eq_u32 s20, 0
	s_cbranch_scc1 .LBB1_189
; %bb.186:                              ;   in Loop: Header=BB1_145 Depth=1
	s_mov_b64 s[16:17], 0
	v_pk_mov_b32 v[28:29], 0, 0
	s_mov_b64 s[18:19], 0
.LBB1_187:                              ;   Parent Loop BB1_145 Depth=1
                                        ; =>  This Inner Loop Header: Depth=2
	s_add_u32 s22, s4, s18
	s_addc_u32 s23, s5, s19
	global_load_ubyte v1, v5, s[22:23]
	s_add_u32 s18, s18, 1
	s_addc_u32 s19, s19, 0
	s_waitcnt vmcnt(0)
	v_and_b32_e32 v4, 0xffff, v1
	v_lshlrev_b64 v[12:13], s16, v[4:5]
	s_add_u32 s16, s16, 8
	s_addc_u32 s17, s17, 0
	v_or_b32_e32 v28, v12, v28
	s_cmp_lg_u32 s20, s18
	v_or_b32_e32 v29, v13, v29
	s_cbranch_scc1 .LBB1_187
	s_branch .LBB1_190
.LBB1_188:                              ;   in Loop: Header=BB1_145 Depth=1
                                        ; implicit-def: $vgpr28_vgpr29
                                        ; implicit-def: $sgpr21
	s_branch .LBB1_191
.LBB1_189:                              ;   in Loop: Header=BB1_145 Depth=1
	v_pk_mov_b32 v[28:29], 0, 0
.LBB1_190:                              ;   in Loop: Header=BB1_145 Depth=1
	s_mov_b32 s21, 0
	s_cbranch_execnz .LBB1_192
.LBB1_191:                              ;   in Loop: Header=BB1_145 Depth=1
	global_load_dwordx2 v[28:29], v5, s[4:5]
	s_add_i32 s21, s20, -8
	s_add_u32 s4, s4, 8
	s_addc_u32 s5, s5, 0
.LBB1_192:                              ;   in Loop: Header=BB1_145 Depth=1
	s_cmp_gt_u32 s21, 7
	s_cbranch_scc1 .LBB1_196
; %bb.193:                              ;   in Loop: Header=BB1_145 Depth=1
	s_cmp_eq_u32 s21, 0
	s_cbranch_scc1 .LBB1_197
; %bb.194:                              ;   in Loop: Header=BB1_145 Depth=1
	s_mov_b64 s[16:17], 0
	v_pk_mov_b32 v[30:31], 0, 0
	s_mov_b64 s[18:19], s[4:5]
.LBB1_195:                              ;   Parent Loop BB1_145 Depth=1
                                        ; =>  This Inner Loop Header: Depth=2
	global_load_ubyte v1, v5, s[18:19]
	s_add_i32 s21, s21, -1
	s_waitcnt vmcnt(0)
	v_and_b32_e32 v4, 0xffff, v1
	v_lshlrev_b64 v[12:13], s16, v[4:5]
	s_add_u32 s16, s16, 8
	s_addc_u32 s17, s17, 0
	s_add_u32 s18, s18, 1
	s_addc_u32 s19, s19, 0
	v_or_b32_e32 v30, v12, v30
	s_cmp_lg_u32 s21, 0
	v_or_b32_e32 v31, v13, v31
	s_cbranch_scc1 .LBB1_195
	s_branch .LBB1_198
.LBB1_196:                              ;   in Loop: Header=BB1_145 Depth=1
	s_branch .LBB1_199
.LBB1_197:                              ;   in Loop: Header=BB1_145 Depth=1
	v_pk_mov_b32 v[30:31], 0, 0
.LBB1_198:                              ;   in Loop: Header=BB1_145 Depth=1
	s_cbranch_execnz .LBB1_200
.LBB1_199:                              ;   in Loop: Header=BB1_145 Depth=1
	global_load_dwordx2 v[30:31], v5, s[4:5]
.LBB1_200:                              ;   in Loop: Header=BB1_145 Depth=1
	v_readfirstlane_b32 s4, v49
	v_cmp_eq_u32_e64 s[4:5], s4, v49
	s_waitcnt vmcnt(0)
	v_pk_mov_b32 v[12:13], 0, 0
	s_and_saveexec_b64 s[16:17], s[4:5]
	s_cbranch_execz .LBB1_206
; %bb.201:                              ;   in Loop: Header=BB1_145 Depth=1
	global_load_dwordx2 v[34:35], v5, s[10:11] offset:24 glc
	s_waitcnt vmcnt(0)
	buffer_invl2
	buffer_wbinvl1_vol
	global_load_dwordx2 v[12:13], v5, s[10:11] offset:40
	global_load_dwordx2 v[16:17], v5, s[10:11]
	s_waitcnt vmcnt(1)
	v_and_b32_e32 v1, v12, v34
	v_and_b32_e32 v3, v13, v35
	v_mul_lo_u32 v3, v3, 24
	v_mul_hi_u32 v4, v1, 24
	v_mul_lo_u32 v1, v1, 24
	v_add_u32_e32 v3, v4, v3
	s_waitcnt vmcnt(0)
	v_add_co_u32_e32 v12, vcc, v16, v1
	v_addc_co_u32_e32 v13, vcc, v17, v3, vcc
	global_load_dwordx2 v[32:33], v[12:13], off glc
	s_waitcnt vmcnt(0)
	global_atomic_cmpswap_x2 v[12:13], v5, v[32:35], s[10:11] offset:24 glc
	s_waitcnt vmcnt(0)
	buffer_invl2
	buffer_wbinvl1_vol
	v_cmp_ne_u64_e32 vcc, v[12:13], v[34:35]
	s_and_saveexec_b64 s[18:19], vcc
	s_cbranch_execz .LBB1_205
; %bb.202:                              ;   in Loop: Header=BB1_145 Depth=1
	s_mov_b64 s[20:21], 0
.LBB1_203:                              ;   Parent Loop BB1_145 Depth=1
                                        ; =>  This Inner Loop Header: Depth=2
	s_sleep 1
	global_load_dwordx2 v[16:17], v5, s[10:11] offset:40
	global_load_dwordx2 v[32:33], v5, s[10:11]
	v_pk_mov_b32 v[34:35], v[12:13], v[12:13] op_sel:[0,1]
	s_waitcnt vmcnt(1)
	v_and_b32_e32 v3, v16, v34
	s_waitcnt vmcnt(0)
	v_mad_u64_u32 v[12:13], s[22:23], v3, 24, v[32:33]
	v_and_b32_e32 v1, v17, v35
	v_mov_b32_e32 v4, v13
	v_mad_u64_u32 v[16:17], s[22:23], v1, 24, v[4:5]
	v_mov_b32_e32 v13, v16
	global_load_dwordx2 v[32:33], v[12:13], off glc
	s_waitcnt vmcnt(0)
	global_atomic_cmpswap_x2 v[12:13], v5, v[32:35], s[10:11] offset:24 glc
	s_waitcnt vmcnt(0)
	buffer_invl2
	buffer_wbinvl1_vol
	v_cmp_eq_u64_e32 vcc, v[12:13], v[34:35]
	s_or_b64 s[20:21], vcc, s[20:21]
	s_andn2_b64 exec, exec, s[20:21]
	s_cbranch_execnz .LBB1_203
; %bb.204:                              ;   in Loop: Header=BB1_145 Depth=1
	s_or_b64 exec, exec, s[20:21]
.LBB1_205:                              ;   in Loop: Header=BB1_145 Depth=1
	s_or_b64 exec, exec, s[18:19]
.LBB1_206:                              ;   in Loop: Header=BB1_145 Depth=1
	s_or_b64 exec, exec, s[16:17]
	global_load_dwordx2 v[16:17], v5, s[10:11] offset:40
	global_load_dwordx4 v[32:35], v5, s[10:11]
	v_readfirstlane_b32 s16, v12
	v_readfirstlane_b32 s17, v13
	s_mov_b64 s[18:19], exec
	s_waitcnt vmcnt(1)
	v_readfirstlane_b32 s20, v16
	v_readfirstlane_b32 s21, v17
	s_and_b64 s[20:21], s[16:17], s[20:21]
	s_mul_i32 s22, s21, 24
	s_mul_hi_u32 s23, s20, 24
	s_mul_i32 s24, s20, 24
	s_add_i32 s22, s23, s22
	v_mov_b32_e32 v1, s22
	s_waitcnt vmcnt(0)
	v_add_co_u32_e32 v38, vcc, s24, v32
	v_addc_co_u32_e32 v39, vcc, v33, v1, vcc
	s_and_saveexec_b64 s[22:23], s[4:5]
	s_cbranch_execz .LBB1_208
; %bb.207:                              ;   in Loop: Header=BB1_145 Depth=1
	v_pk_mov_b32 v[12:13], s[18:19], s[18:19] op_sel:[0,1]
	global_store_dwordx4 v[38:39], v[12:15], off offset:8
.LBB1_208:                              ;   in Loop: Header=BB1_145 Depth=1
	s_or_b64 exec, exec, s[22:23]
	s_lshl_b64 s[18:19], s[20:21], 12
	v_mov_b32_e32 v1, s19
	v_add_co_u32_e32 v34, vcc, s18, v34
	v_addc_co_u32_e32 v1, vcc, v35, v1, vcc
	v_or_b32_e32 v3, 0, v11
	v_or_b32_e32 v4, v10, v0
	v_cmp_gt_u64_e64 vcc, s[12:13], 56
	s_lshl_b32 s18, s14, 2
	v_cndmask_b32_e32 v17, v3, v11, vcc
	v_cndmask_b32_e32 v3, v4, v10, vcc
	s_add_i32 s18, s18, 28
	s_and_b32 s18, s18, 0x1e0
	v_and_b32_e32 v3, 0xffffff1f, v3
	v_or_b32_e32 v16, s18, v3
	v_readfirstlane_b32 s18, v34
	v_readfirstlane_b32 s19, v1
	s_nop 4
	global_store_dwordx4 v48, v[16:19], s[18:19]
	global_store_dwordx4 v48, v[20:23], s[18:19] offset:16
	global_store_dwordx4 v48, v[24:27], s[18:19] offset:32
	;; [unrolled: 1-line block ×3, first 2 shown]
	s_and_saveexec_b64 s[18:19], s[4:5]
	s_cbranch_execz .LBB1_216
; %bb.209:                              ;   in Loop: Header=BB1_145 Depth=1
	global_load_dwordx2 v[20:21], v5, s[10:11] offset:32 glc
	global_load_dwordx2 v[10:11], v5, s[10:11] offset:40
	v_mov_b32_e32 v18, s16
	v_mov_b32_e32 v19, s17
	s_waitcnt vmcnt(0)
	v_readfirstlane_b32 s20, v10
	v_readfirstlane_b32 s21, v11
	s_and_b64 s[20:21], s[20:21], s[16:17]
	s_mul_i32 s21, s21, 24
	s_mul_hi_u32 s22, s20, 24
	s_mul_i32 s20, s20, 24
	s_add_i32 s21, s22, s21
	v_mov_b32_e32 v3, s21
	v_add_co_u32_e32 v16, vcc, s20, v32
	v_addc_co_u32_e32 v17, vcc, v33, v3, vcc
	global_store_dwordx2 v[16:17], v[20:21], off
	buffer_wbl2
	s_waitcnt vmcnt(0)
	global_atomic_cmpswap_x2 v[12:13], v5, v[18:21], s[10:11] offset:32 glc
	s_waitcnt vmcnt(0)
	v_cmp_ne_u64_e32 vcc, v[12:13], v[20:21]
	s_and_saveexec_b64 s[20:21], vcc
	s_cbranch_execz .LBB1_212
; %bb.210:                              ;   in Loop: Header=BB1_145 Depth=1
	s_mov_b64 s[22:23], 0
.LBB1_211:                              ;   Parent Loop BB1_145 Depth=1
                                        ; =>  This Inner Loop Header: Depth=2
	s_sleep 1
	global_store_dwordx2 v[16:17], v[12:13], off
	v_mov_b32_e32 v10, s16
	v_mov_b32_e32 v11, s17
	buffer_wbl2
	s_waitcnt vmcnt(0)
	global_atomic_cmpswap_x2 v[10:11], v5, v[10:13], s[10:11] offset:32 glc
	s_waitcnt vmcnt(0)
	v_cmp_eq_u64_e32 vcc, v[10:11], v[12:13]
	s_or_b64 s[22:23], vcc, s[22:23]
	v_pk_mov_b32 v[12:13], v[10:11], v[10:11] op_sel:[0,1]
	s_andn2_b64 exec, exec, s[22:23]
	s_cbranch_execnz .LBB1_211
.LBB1_212:                              ;   in Loop: Header=BB1_145 Depth=1
	s_or_b64 exec, exec, s[20:21]
	global_load_dwordx2 v[10:11], v5, s[10:11] offset:16
	s_mov_b64 s[22:23], exec
	v_mbcnt_lo_u32_b32 v3, s22, 0
	v_mbcnt_hi_u32_b32 v3, s23, v3
	v_cmp_eq_u32_e32 vcc, 0, v3
	s_and_saveexec_b64 s[20:21], vcc
	s_cbranch_execz .LBB1_214
; %bb.213:                              ;   in Loop: Header=BB1_145 Depth=1
	s_bcnt1_i32_b64 s22, s[22:23]
	v_mov_b32_e32 v4, s22
	buffer_wbl2
	s_waitcnt vmcnt(0)
	global_atomic_add_x2 v[10:11], v[4:5], off offset:8
.LBB1_214:                              ;   in Loop: Header=BB1_145 Depth=1
	s_or_b64 exec, exec, s[20:21]
	s_waitcnt vmcnt(0)
	global_load_dwordx2 v[12:13], v[10:11], off offset:16
	s_waitcnt vmcnt(0)
	v_cmp_eq_u64_e32 vcc, 0, v[12:13]
	s_cbranch_vccnz .LBB1_216
; %bb.215:                              ;   in Loop: Header=BB1_145 Depth=1
	global_load_dword v4, v[10:11], off offset:24
	s_waitcnt vmcnt(0)
	v_and_b32_e32 v3, 0xffffff, v4
	v_readfirstlane_b32 m0, v3
	buffer_wbl2
	global_store_dwordx2 v[12:13], v[4:5], off
	s_sendmsg sendmsg(MSG_INTERRUPT)
.LBB1_216:                              ;   in Loop: Header=BB1_145 Depth=1
	s_or_b64 exec, exec, s[18:19]
	v_add_co_u32_e32 v10, vcc, v34, v48
	v_addc_co_u32_e32 v11, vcc, 0, v1, vcc
	s_branch .LBB1_220
.LBB1_217:                              ;   in Loop: Header=BB1_220 Depth=2
	s_or_b64 exec, exec, s[18:19]
	v_readfirstlane_b32 s18, v1
	s_cmp_eq_u32 s18, 0
	s_cbranch_scc1 .LBB1_219
; %bb.218:                              ;   in Loop: Header=BB1_220 Depth=2
	s_sleep 1
	s_cbranch_execnz .LBB1_220
	s_branch .LBB1_222
.LBB1_219:                              ;   in Loop: Header=BB1_145 Depth=1
	s_branch .LBB1_222
.LBB1_220:                              ;   Parent Loop BB1_145 Depth=1
                                        ; =>  This Inner Loop Header: Depth=2
	v_mov_b32_e32 v1, 1
	s_and_saveexec_b64 s[18:19], s[4:5]
	s_cbranch_execz .LBB1_217
; %bb.221:                              ;   in Loop: Header=BB1_220 Depth=2
	global_load_dword v1, v[38:39], off offset:20 glc
	s_waitcnt vmcnt(0)
	buffer_invl2
	buffer_wbinvl1_vol
	v_and_b32_e32 v1, 1, v1
	s_branch .LBB1_217
.LBB1_222:                              ;   in Loop: Header=BB1_145 Depth=1
	global_load_dwordx4 v[10:13], v[10:11], off
	s_and_saveexec_b64 s[18:19], s[4:5]
	s_cbranch_execz .LBB1_144
; %bb.223:                              ;   in Loop: Header=BB1_145 Depth=1
	global_load_dwordx2 v[12:13], v5, s[10:11] offset:40
	global_load_dwordx2 v[20:21], v5, s[10:11] offset:24 glc
	global_load_dwordx2 v[22:23], v5, s[10:11]
	v_mov_b32_e32 v1, s17
	s_waitcnt vmcnt(2)
	v_add_co_u32_e32 v3, vcc, 1, v12
	v_addc_co_u32_e32 v4, vcc, 0, v13, vcc
	v_add_co_u32_e32 v16, vcc, s16, v3
	v_addc_co_u32_e32 v17, vcc, v4, v1, vcc
	v_cmp_eq_u64_e32 vcc, 0, v[16:17]
	v_cndmask_b32_e32 v17, v17, v4, vcc
	v_cndmask_b32_e32 v16, v16, v3, vcc
	v_and_b32_e32 v1, v17, v13
	v_and_b32_e32 v3, v16, v12
	v_mul_lo_u32 v1, v1, 24
	v_mul_hi_u32 v4, v3, 24
	v_mul_lo_u32 v3, v3, 24
	v_add_u32_e32 v1, v4, v1
	s_waitcnt vmcnt(0)
	v_add_co_u32_e32 v12, vcc, v22, v3
	v_addc_co_u32_e32 v13, vcc, v23, v1, vcc
	v_mov_b32_e32 v18, v20
	global_store_dwordx2 v[12:13], v[20:21], off
	v_mov_b32_e32 v19, v21
	buffer_wbl2
	s_waitcnt vmcnt(0)
	global_atomic_cmpswap_x2 v[18:19], v5, v[16:19], s[10:11] offset:24 glc
	s_waitcnt vmcnt(0)
	v_cmp_ne_u64_e32 vcc, v[18:19], v[20:21]
	s_and_b64 exec, exec, vcc
	s_cbranch_execz .LBB1_144
; %bb.224:                              ;   in Loop: Header=BB1_145 Depth=1
	s_mov_b64 s[4:5], 0
.LBB1_225:                              ;   Parent Loop BB1_145 Depth=1
                                        ; =>  This Inner Loop Header: Depth=2
	s_sleep 1
	global_store_dwordx2 v[12:13], v[18:19], off
	buffer_wbl2
	s_waitcnt vmcnt(0)
	global_atomic_cmpswap_x2 v[20:21], v5, v[16:19], s[10:11] offset:24 glc
	s_waitcnt vmcnt(0)
	v_cmp_eq_u64_e32 vcc, v[20:21], v[18:19]
	s_or_b64 s[4:5], vcc, s[4:5]
	v_pk_mov_b32 v[18:19], v[20:21], v[20:21] op_sel:[0,1]
	s_andn2_b64 exec, exec, s[4:5]
	s_cbranch_execnz .LBB1_225
	s_branch .LBB1_144
.LBB1_226:
                                        ; implicit-def: $vgpr10_vgpr11
	s_cbranch_execnz .LBB1_228
	s_branch .LBB1_254
.LBB1_227:
	s_branch .LBB1_254
.LBB1_228:
	v_readfirstlane_b32 s4, v49
	v_cmp_eq_u32_e64 s[4:5], s4, v49
	v_pk_mov_b32 v[0:1], 0, 0
	s_and_saveexec_b64 s[6:7], s[4:5]
	s_cbranch_execz .LBB1_234
; %bb.229:
	v_mov_b32_e32 v3, 0
	global_load_dwordx2 v[12:13], v3, s[10:11] offset:24 glc
	s_waitcnt vmcnt(0)
	buffer_invl2
	buffer_wbinvl1_vol
	global_load_dwordx2 v[0:1], v3, s[10:11] offset:40
	global_load_dwordx2 v[4:5], v3, s[10:11]
	s_waitcnt vmcnt(1)
	v_and_b32_e32 v0, v0, v12
	v_and_b32_e32 v1, v1, v13
	v_mul_lo_u32 v1, v1, 24
	v_mul_hi_u32 v10, v0, 24
	v_mul_lo_u32 v0, v0, 24
	v_add_u32_e32 v1, v10, v1
	s_waitcnt vmcnt(0)
	v_add_co_u32_e32 v0, vcc, v4, v0
	v_addc_co_u32_e32 v1, vcc, v5, v1, vcc
	global_load_dwordx2 v[10:11], v[0:1], off glc
	s_waitcnt vmcnt(0)
	global_atomic_cmpswap_x2 v[0:1], v3, v[10:13], s[10:11] offset:24 glc
	s_waitcnt vmcnt(0)
	buffer_invl2
	buffer_wbinvl1_vol
	v_cmp_ne_u64_e32 vcc, v[0:1], v[12:13]
	s_and_saveexec_b64 s[12:13], vcc
	s_cbranch_execz .LBB1_233
; %bb.230:
	s_mov_b64 s[14:15], 0
.LBB1_231:                              ; =>This Inner Loop Header: Depth=1
	s_sleep 1
	global_load_dwordx2 v[4:5], v3, s[10:11] offset:40
	global_load_dwordx2 v[10:11], v3, s[10:11]
	v_pk_mov_b32 v[12:13], v[0:1], v[0:1] op_sel:[0,1]
	s_waitcnt vmcnt(1)
	v_and_b32_e32 v0, v4, v12
	s_waitcnt vmcnt(0)
	v_mad_u64_u32 v[0:1], s[16:17], v0, 24, v[10:11]
	v_and_b32_e32 v5, v5, v13
	v_mov_b32_e32 v4, v1
	v_mad_u64_u32 v[4:5], s[16:17], v5, 24, v[4:5]
	v_mov_b32_e32 v1, v4
	global_load_dwordx2 v[10:11], v[0:1], off glc
	s_waitcnt vmcnt(0)
	global_atomic_cmpswap_x2 v[0:1], v3, v[10:13], s[10:11] offset:24 glc
	s_waitcnt vmcnt(0)
	buffer_invl2
	buffer_wbinvl1_vol
	v_cmp_eq_u64_e32 vcc, v[0:1], v[12:13]
	s_or_b64 s[14:15], vcc, s[14:15]
	s_andn2_b64 exec, exec, s[14:15]
	s_cbranch_execnz .LBB1_231
; %bb.232:
	s_or_b64 exec, exec, s[14:15]
.LBB1_233:
	s_or_b64 exec, exec, s[12:13]
.LBB1_234:
	s_or_b64 exec, exec, s[6:7]
	s_waitcnt vmcnt(0)
	v_mov_b32_e32 v10, 0
	global_load_dwordx2 v[4:5], v10, s[10:11] offset:40
	global_load_dwordx4 v[12:15], v10, s[10:11]
	v_readfirstlane_b32 s6, v0
	v_readfirstlane_b32 s7, v1
	s_mov_b64 s[12:13], exec
	s_waitcnt vmcnt(1)
	v_readfirstlane_b32 s14, v4
	v_readfirstlane_b32 s15, v5
	s_and_b64 s[14:15], s[6:7], s[14:15]
	s_mul_i32 s16, s15, 24
	s_mul_hi_u32 s17, s14, 24
	s_mul_i32 s18, s14, 24
	s_add_i32 s16, s17, s16
	v_mov_b32_e32 v1, s16
	s_waitcnt vmcnt(0)
	v_add_co_u32_e32 v0, vcc, s18, v12
	v_addc_co_u32_e32 v1, vcc, v13, v1, vcc
	s_and_saveexec_b64 s[16:17], s[4:5]
	s_cbranch_execz .LBB1_236
; %bb.235:
	v_pk_mov_b32 v[16:17], s[12:13], s[12:13] op_sel:[0,1]
	v_mov_b32_e32 v18, 2
	v_mov_b32_e32 v19, 1
	global_store_dwordx4 v[0:1], v[16:19], off offset:8
.LBB1_236:
	s_or_b64 exec, exec, s[16:17]
	s_lshl_b64 s[12:13], s[14:15], 12
	v_mov_b32_e32 v3, s13
	v_add_co_u32_e32 v14, vcc, s12, v14
	s_movk_i32 s12, 0xff1f
	v_addc_co_u32_e32 v3, vcc, v15, v3, vcc
	v_and_or_b32 v8, v8, s12, 32
	s_mov_b32 s12, 0
	v_mov_b32_e32 v11, v10
	v_readfirstlane_b32 s16, v14
	v_readfirstlane_b32 s17, v3
	s_mov_b32 s13, s12
	v_add_co_u32_e32 v4, vcc, v14, v48
	s_mov_b32 s14, s12
	s_mov_b32 s15, s12
	s_nop 0
	global_store_dwordx4 v48, v[8:11], s[16:17]
	v_addc_co_u32_e32 v5, vcc, 0, v3, vcc
	v_pk_mov_b32 v[8:9], s[12:13], s[12:13] op_sel:[0,1]
	v_pk_mov_b32 v[10:11], s[14:15], s[14:15] op_sel:[0,1]
	global_store_dwordx4 v48, v[8:11], s[16:17] offset:16
	global_store_dwordx4 v48, v[8:11], s[16:17] offset:32
	;; [unrolled: 1-line block ×3, first 2 shown]
	s_and_saveexec_b64 s[12:13], s[4:5]
	s_cbranch_execz .LBB1_244
; %bb.237:
	v_mov_b32_e32 v3, 0
	global_load_dwordx2 v[16:17], v3, s[10:11] offset:32 glc
	global_load_dwordx2 v[8:9], v3, s[10:11] offset:40
	v_mov_b32_e32 v14, s6
	v_mov_b32_e32 v15, s7
	s_waitcnt vmcnt(0)
	v_readfirstlane_b32 s14, v8
	v_readfirstlane_b32 s15, v9
	s_and_b64 s[14:15], s[14:15], s[6:7]
	s_mul_i32 s15, s15, 24
	s_mul_hi_u32 s16, s14, 24
	s_mul_i32 s14, s14, 24
	s_add_i32 s15, s16, s15
	v_mov_b32_e32 v8, s15
	v_add_co_u32_e32 v12, vcc, s14, v12
	v_addc_co_u32_e32 v13, vcc, v13, v8, vcc
	global_store_dwordx2 v[12:13], v[16:17], off
	buffer_wbl2
	s_waitcnt vmcnt(0)
	global_atomic_cmpswap_x2 v[10:11], v3, v[14:17], s[10:11] offset:32 glc
	s_waitcnt vmcnt(0)
	v_cmp_ne_u64_e32 vcc, v[10:11], v[16:17]
	s_and_saveexec_b64 s[14:15], vcc
	s_cbranch_execz .LBB1_240
; %bb.238:
	s_mov_b64 s[16:17], 0
.LBB1_239:                              ; =>This Inner Loop Header: Depth=1
	s_sleep 1
	global_store_dwordx2 v[12:13], v[10:11], off
	v_mov_b32_e32 v8, s6
	v_mov_b32_e32 v9, s7
	buffer_wbl2
	s_waitcnt vmcnt(0)
	global_atomic_cmpswap_x2 v[8:9], v3, v[8:11], s[10:11] offset:32 glc
	s_waitcnt vmcnt(0)
	v_cmp_eq_u64_e32 vcc, v[8:9], v[10:11]
	s_or_b64 s[16:17], vcc, s[16:17]
	v_pk_mov_b32 v[10:11], v[8:9], v[8:9] op_sel:[0,1]
	s_andn2_b64 exec, exec, s[16:17]
	s_cbranch_execnz .LBB1_239
.LBB1_240:
	s_or_b64 exec, exec, s[14:15]
	v_mov_b32_e32 v11, 0
	global_load_dwordx2 v[8:9], v11, s[10:11] offset:16
	s_mov_b64 s[14:15], exec
	v_mbcnt_lo_u32_b32 v3, s14, 0
	v_mbcnt_hi_u32_b32 v3, s15, v3
	v_cmp_eq_u32_e32 vcc, 0, v3
	s_and_saveexec_b64 s[16:17], vcc
	s_cbranch_execz .LBB1_242
; %bb.241:
	s_bcnt1_i32_b64 s14, s[14:15]
	v_mov_b32_e32 v10, s14
	buffer_wbl2
	s_waitcnt vmcnt(0)
	global_atomic_add_x2 v[8:9], v[10:11], off offset:8
.LBB1_242:
	s_or_b64 exec, exec, s[16:17]
	s_waitcnt vmcnt(0)
	global_load_dwordx2 v[10:11], v[8:9], off offset:16
	s_waitcnt vmcnt(0)
	v_cmp_eq_u64_e32 vcc, 0, v[10:11]
	s_cbranch_vccnz .LBB1_244
; %bb.243:
	global_load_dword v8, v[8:9], off offset:24
	v_mov_b32_e32 v9, 0
	s_waitcnt vmcnt(0)
	v_and_b32_e32 v3, 0xffffff, v8
	v_readfirstlane_b32 m0, v3
	buffer_wbl2
	global_store_dwordx2 v[10:11], v[8:9], off
	s_sendmsg sendmsg(MSG_INTERRUPT)
.LBB1_244:
	s_or_b64 exec, exec, s[12:13]
	s_branch .LBB1_248
.LBB1_245:                              ;   in Loop: Header=BB1_248 Depth=1
	s_or_b64 exec, exec, s[12:13]
	v_readfirstlane_b32 s12, v3
	s_cmp_eq_u32 s12, 0
	s_cbranch_scc1 .LBB1_247
; %bb.246:                              ;   in Loop: Header=BB1_248 Depth=1
	s_sleep 1
	s_cbranch_execnz .LBB1_248
	s_branch .LBB1_250
.LBB1_247:
	s_branch .LBB1_250
.LBB1_248:                              ; =>This Inner Loop Header: Depth=1
	v_mov_b32_e32 v3, 1
	s_and_saveexec_b64 s[12:13], s[4:5]
	s_cbranch_execz .LBB1_245
; %bb.249:                              ;   in Loop: Header=BB1_248 Depth=1
	global_load_dword v3, v[0:1], off offset:20 glc
	s_waitcnt vmcnt(0)
	buffer_invl2
	buffer_wbinvl1_vol
	v_and_b32_e32 v3, 1, v3
	s_branch .LBB1_245
.LBB1_250:
	global_load_dwordx2 v[10:11], v[4:5], off
	s_and_saveexec_b64 s[12:13], s[4:5]
	s_cbranch_execz .LBB1_253
; %bb.251:
	v_mov_b32_e32 v3, 0
	global_load_dwordx2 v[0:1], v3, s[10:11] offset:40
	global_load_dwordx2 v[4:5], v3, s[10:11] offset:24 glc
	global_load_dwordx2 v[8:9], v3, s[10:11]
	v_mov_b32_e32 v13, s7
	s_mov_b64 s[4:5], 0
	s_waitcnt vmcnt(2)
	v_add_co_u32_e32 v15, vcc, 1, v0
	v_addc_co_u32_e32 v16, vcc, 0, v1, vcc
	v_add_co_u32_e32 v12, vcc, s6, v15
	v_addc_co_u32_e32 v13, vcc, v16, v13, vcc
	v_cmp_eq_u64_e32 vcc, 0, v[12:13]
	v_cndmask_b32_e32 v13, v13, v16, vcc
	v_cndmask_b32_e32 v12, v12, v15, vcc
	v_and_b32_e32 v1, v13, v1
	v_and_b32_e32 v0, v12, v0
	v_mul_lo_u32 v1, v1, 24
	v_mul_hi_u32 v15, v0, 24
	v_mul_lo_u32 v0, v0, 24
	v_add_u32_e32 v1, v15, v1
	s_waitcnt vmcnt(0)
	v_add_co_u32_e32 v0, vcc, v8, v0
	v_addc_co_u32_e32 v1, vcc, v9, v1, vcc
	v_mov_b32_e32 v14, v4
	global_store_dwordx2 v[0:1], v[4:5], off
	v_mov_b32_e32 v15, v5
	buffer_wbl2
	s_waitcnt vmcnt(0)
	global_atomic_cmpswap_x2 v[14:15], v3, v[12:15], s[10:11] offset:24 glc
	s_waitcnt vmcnt(0)
	v_cmp_ne_u64_e32 vcc, v[14:15], v[4:5]
	s_and_b64 exec, exec, vcc
	s_cbranch_execz .LBB1_253
.LBB1_252:                              ; =>This Inner Loop Header: Depth=1
	s_sleep 1
	global_store_dwordx2 v[0:1], v[14:15], off
	buffer_wbl2
	s_waitcnt vmcnt(0)
	global_atomic_cmpswap_x2 v[4:5], v3, v[12:15], s[10:11] offset:24 glc
	s_waitcnt vmcnt(0)
	v_cmp_eq_u64_e32 vcc, v[4:5], v[14:15]
	s_or_b64 s[4:5], vcc, s[4:5]
	v_pk_mov_b32 v[14:15], v[4:5], v[4:5] op_sel:[0,1]
	s_andn2_b64 exec, exec, s[4:5]
	s_cbranch_execnz .LBB1_252
.LBB1_253:
	s_or_b64 exec, exec, s[12:13]
.LBB1_254:
	v_readfirstlane_b32 s4, v49
	v_cmp_eq_u32_e64 s[4:5], s4, v49
	v_pk_mov_b32 v[0:1], 0, 0
	s_and_saveexec_b64 s[6:7], s[4:5]
	s_cbranch_execz .LBB1_260
; %bb.255:
	v_mov_b32_e32 v3, 0
	global_load_dwordx2 v[14:15], v3, s[10:11] offset:24 glc
	s_waitcnt vmcnt(0)
	buffer_invl2
	buffer_wbinvl1_vol
	global_load_dwordx2 v[0:1], v3, s[10:11] offset:40
	global_load_dwordx2 v[4:5], v3, s[10:11]
	s_waitcnt vmcnt(1)
	v_and_b32_e32 v0, v0, v14
	v_and_b32_e32 v1, v1, v15
	v_mul_lo_u32 v1, v1, 24
	v_mul_hi_u32 v8, v0, 24
	v_mul_lo_u32 v0, v0, 24
	v_add_u32_e32 v1, v8, v1
	s_waitcnt vmcnt(0)
	v_add_co_u32_e32 v0, vcc, v4, v0
	v_addc_co_u32_e32 v1, vcc, v5, v1, vcc
	global_load_dwordx2 v[12:13], v[0:1], off glc
	s_waitcnt vmcnt(0)
	global_atomic_cmpswap_x2 v[0:1], v3, v[12:15], s[10:11] offset:24 glc
	s_waitcnt vmcnt(0)
	buffer_invl2
	buffer_wbinvl1_vol
	v_cmp_ne_u64_e32 vcc, v[0:1], v[14:15]
	s_and_saveexec_b64 s[12:13], vcc
	s_cbranch_execz .LBB1_259
; %bb.256:
	s_mov_b64 s[14:15], 0
.LBB1_257:                              ; =>This Inner Loop Header: Depth=1
	s_sleep 1
	global_load_dwordx2 v[4:5], v3, s[10:11] offset:40
	global_load_dwordx2 v[8:9], v3, s[10:11]
	v_pk_mov_b32 v[14:15], v[0:1], v[0:1] op_sel:[0,1]
	s_waitcnt vmcnt(1)
	v_and_b32_e32 v0, v4, v14
	s_waitcnt vmcnt(0)
	v_mad_u64_u32 v[0:1], s[16:17], v0, 24, v[8:9]
	v_and_b32_e32 v5, v5, v15
	v_mov_b32_e32 v4, v1
	v_mad_u64_u32 v[4:5], s[16:17], v5, 24, v[4:5]
	v_mov_b32_e32 v1, v4
	global_load_dwordx2 v[12:13], v[0:1], off glc
	s_waitcnt vmcnt(0)
	global_atomic_cmpswap_x2 v[0:1], v3, v[12:15], s[10:11] offset:24 glc
	s_waitcnt vmcnt(0)
	buffer_invl2
	buffer_wbinvl1_vol
	v_cmp_eq_u64_e32 vcc, v[0:1], v[14:15]
	s_or_b64 s[14:15], vcc, s[14:15]
	s_andn2_b64 exec, exec, s[14:15]
	s_cbranch_execnz .LBB1_257
; %bb.258:
	s_or_b64 exec, exec, s[14:15]
.LBB1_259:
	s_or_b64 exec, exec, s[12:13]
.LBB1_260:
	s_or_b64 exec, exec, s[6:7]
	s_waitcnt vmcnt(0)
	v_mov_b32_e32 v13, 0
	global_load_dwordx2 v[4:5], v13, s[10:11] offset:40
	global_load_dwordx4 v[14:17], v13, s[10:11]
	v_readfirstlane_b32 s6, v0
	v_readfirstlane_b32 s7, v1
	s_mov_b64 s[12:13], exec
	s_waitcnt vmcnt(1)
	v_readfirstlane_b32 s14, v4
	v_readfirstlane_b32 s15, v5
	s_and_b64 s[14:15], s[6:7], s[14:15]
	s_mul_i32 s16, s15, 24
	s_mul_hi_u32 s17, s14, 24
	s_mul_i32 s18, s14, 24
	s_add_i32 s16, s17, s16
	v_mov_b32_e32 v0, s16
	s_waitcnt vmcnt(0)
	v_add_co_u32_e32 v4, vcc, s18, v14
	v_addc_co_u32_e32 v5, vcc, v15, v0, vcc
	s_and_saveexec_b64 s[16:17], s[4:5]
	s_cbranch_execz .LBB1_262
; %bb.261:
	v_pk_mov_b32 v[18:19], s[12:13], s[12:13] op_sel:[0,1]
	v_mov_b32_e32 v20, 2
	v_mov_b32_e32 v21, 1
	global_store_dwordx4 v[4:5], v[18:21], off offset:8
.LBB1_262:
	s_or_b64 exec, exec, s[16:17]
	s_lshl_b64 s[12:13], s[14:15], 12
	v_mov_b32_e32 v1, s13
	v_add_co_u32_e32 v0, vcc, s12, v16
	v_addc_co_u32_e32 v1, vcc, v17, v1, vcc
	s_mov_b32 s12, 0
	s_movk_i32 s13, 0xff1f
	v_and_or_b32 v10, v10, s13, 32
	v_add_co_u32_e32 v8, vcc, v0, v48
	s_mov_b32 s13, s12
	v_addc_co_u32_e32 v9, vcc, 0, v1, vcc
	v_mov_b32_e32 v12, v2
	v_readfirstlane_b32 s16, v0
	v_readfirstlane_b32 s17, v1
	s_mov_b32 s14, s12
	s_mov_b32 s15, s12
	v_pk_mov_b32 v[0:1], s[12:13], s[12:13] op_sel:[0,1]
	v_pk_mov_b32 v[2:3], s[14:15], s[14:15] op_sel:[0,1]
	s_nop 0
	global_store_dwordx4 v48, v[10:13], s[16:17]
	global_store_dwordx4 v48, v[0:3], s[16:17] offset:16
	global_store_dwordx4 v48, v[0:3], s[16:17] offset:32
	;; [unrolled: 1-line block ×3, first 2 shown]
	s_and_saveexec_b64 s[12:13], s[4:5]
	s_cbranch_execz .LBB1_270
; %bb.263:
	v_mov_b32_e32 v12, 0
	global_load_dwordx2 v[18:19], v12, s[10:11] offset:32 glc
	global_load_dwordx2 v[0:1], v12, s[10:11] offset:40
	v_mov_b32_e32 v16, s6
	v_mov_b32_e32 v17, s7
	s_waitcnt vmcnt(0)
	v_readfirstlane_b32 s14, v0
	v_readfirstlane_b32 s15, v1
	s_and_b64 s[14:15], s[14:15], s[6:7]
	s_mul_i32 s15, s15, 24
	s_mul_hi_u32 s16, s14, 24
	s_mul_i32 s14, s14, 24
	s_add_i32 s15, s16, s15
	v_mov_b32_e32 v0, s15
	v_add_co_u32_e32 v10, vcc, s14, v14
	v_addc_co_u32_e32 v11, vcc, v15, v0, vcc
	global_store_dwordx2 v[10:11], v[18:19], off
	buffer_wbl2
	s_waitcnt vmcnt(0)
	global_atomic_cmpswap_x2 v[2:3], v12, v[16:19], s[10:11] offset:32 glc
	s_waitcnt vmcnt(0)
	v_cmp_ne_u64_e32 vcc, v[2:3], v[18:19]
	s_and_saveexec_b64 s[14:15], vcc
	s_cbranch_execz .LBB1_266
; %bb.264:
	s_mov_b64 s[16:17], 0
.LBB1_265:                              ; =>This Inner Loop Header: Depth=1
	s_sleep 1
	global_store_dwordx2 v[10:11], v[2:3], off
	v_mov_b32_e32 v0, s6
	v_mov_b32_e32 v1, s7
	buffer_wbl2
	s_waitcnt vmcnt(0)
	global_atomic_cmpswap_x2 v[0:1], v12, v[0:3], s[10:11] offset:32 glc
	s_waitcnt vmcnt(0)
	v_cmp_eq_u64_e32 vcc, v[0:1], v[2:3]
	s_or_b64 s[16:17], vcc, s[16:17]
	v_pk_mov_b32 v[2:3], v[0:1], v[0:1] op_sel:[0,1]
	s_andn2_b64 exec, exec, s[16:17]
	s_cbranch_execnz .LBB1_265
.LBB1_266:
	s_or_b64 exec, exec, s[14:15]
	v_mov_b32_e32 v3, 0
	global_load_dwordx2 v[0:1], v3, s[10:11] offset:16
	s_mov_b64 s[14:15], exec
	v_mbcnt_lo_u32_b32 v2, s14, 0
	v_mbcnt_hi_u32_b32 v2, s15, v2
	v_cmp_eq_u32_e32 vcc, 0, v2
	s_and_saveexec_b64 s[16:17], vcc
	s_cbranch_execz .LBB1_268
; %bb.267:
	s_bcnt1_i32_b64 s14, s[14:15]
	v_mov_b32_e32 v2, s14
	buffer_wbl2
	s_waitcnt vmcnt(0)
	global_atomic_add_x2 v[0:1], v[2:3], off offset:8
.LBB1_268:
	s_or_b64 exec, exec, s[16:17]
	s_waitcnt vmcnt(0)
	global_load_dwordx2 v[2:3], v[0:1], off offset:16
	s_waitcnt vmcnt(0)
	v_cmp_eq_u64_e32 vcc, 0, v[2:3]
	s_cbranch_vccnz .LBB1_270
; %bb.269:
	global_load_dword v0, v[0:1], off offset:24
	v_mov_b32_e32 v1, 0
	buffer_wbl2
	s_waitcnt vmcnt(0)
	global_store_dwordx2 v[2:3], v[0:1], off
	v_and_b32_e32 v0, 0xffffff, v0
	v_readfirstlane_b32 m0, v0
	s_sendmsg sendmsg(MSG_INTERRUPT)
.LBB1_270:
	s_or_b64 exec, exec, s[12:13]
	s_branch .LBB1_274
.LBB1_271:                              ;   in Loop: Header=BB1_274 Depth=1
	s_or_b64 exec, exec, s[12:13]
	v_readfirstlane_b32 s12, v0
	s_cmp_eq_u32 s12, 0
	s_cbranch_scc1 .LBB1_273
; %bb.272:                              ;   in Loop: Header=BB1_274 Depth=1
	s_sleep 1
	s_cbranch_execnz .LBB1_274
	s_branch .LBB1_276
.LBB1_273:
	s_branch .LBB1_276
.LBB1_274:                              ; =>This Inner Loop Header: Depth=1
	v_mov_b32_e32 v0, 1
	s_and_saveexec_b64 s[12:13], s[4:5]
	s_cbranch_execz .LBB1_271
; %bb.275:                              ;   in Loop: Header=BB1_274 Depth=1
	global_load_dword v0, v[4:5], off offset:20 glc
	s_waitcnt vmcnt(0)
	buffer_invl2
	buffer_wbinvl1_vol
	v_and_b32_e32 v0, 1, v0
	s_branch .LBB1_271
.LBB1_276:
	global_load_dwordx2 v[0:1], v[8:9], off
	s_and_saveexec_b64 s[12:13], s[4:5]
	s_cbranch_execz .LBB1_279
; %bb.277:
	v_mov_b32_e32 v10, 0
	global_load_dwordx2 v[8:9], v10, s[10:11] offset:40
	global_load_dwordx2 v[12:13], v10, s[10:11] offset:24 glc
	global_load_dwordx2 v[14:15], v10, s[10:11]
	v_mov_b32_e32 v3, s7
	s_mov_b64 s[4:5], 0
	s_waitcnt vmcnt(2)
	v_add_co_u32_e32 v5, vcc, 1, v8
	v_addc_co_u32_e32 v11, vcc, 0, v9, vcc
	v_add_co_u32_e32 v2, vcc, s6, v5
	v_addc_co_u32_e32 v3, vcc, v11, v3, vcc
	v_cmp_eq_u64_e32 vcc, 0, v[2:3]
	v_cndmask_b32_e32 v3, v3, v11, vcc
	v_cndmask_b32_e32 v2, v2, v5, vcc
	v_and_b32_e32 v5, v3, v9
	v_and_b32_e32 v8, v2, v8
	v_mul_lo_u32 v5, v5, 24
	v_mul_hi_u32 v9, v8, 24
	v_mul_lo_u32 v8, v8, 24
	v_add_u32_e32 v5, v9, v5
	s_waitcnt vmcnt(0)
	v_add_co_u32_e32 v8, vcc, v14, v8
	v_addc_co_u32_e32 v9, vcc, v15, v5, vcc
	v_mov_b32_e32 v4, v12
	global_store_dwordx2 v[8:9], v[12:13], off
	v_mov_b32_e32 v5, v13
	buffer_wbl2
	s_waitcnt vmcnt(0)
	global_atomic_cmpswap_x2 v[4:5], v10, v[2:5], s[10:11] offset:24 glc
	s_waitcnt vmcnt(0)
	v_cmp_ne_u64_e32 vcc, v[4:5], v[12:13]
	s_and_b64 exec, exec, vcc
	s_cbranch_execz .LBB1_279
.LBB1_278:                              ; =>This Inner Loop Header: Depth=1
	s_sleep 1
	global_store_dwordx2 v[8:9], v[4:5], off
	buffer_wbl2
	s_waitcnt vmcnt(0)
	global_atomic_cmpswap_x2 v[12:13], v10, v[2:5], s[10:11] offset:24 glc
	s_waitcnt vmcnt(0)
	v_cmp_eq_u64_e32 vcc, v[12:13], v[4:5]
	s_or_b64 s[4:5], vcc, s[4:5]
	v_pk_mov_b32 v[4:5], v[12:13], v[12:13] op_sel:[0,1]
	s_andn2_b64 exec, exec, s[4:5]
	s_cbranch_execnz .LBB1_278
.LBB1_279:
	s_or_b64 exec, exec, s[12:13]
	s_mov_b64 s[4:5], 0
	v_pk_mov_b32 v[4:5], v[36:37], v[36:37] op_sel:[0,1]
.LBB1_280:                              ; =>This Inner Loop Header: Depth=1
	flat_load_ubyte v8, v[4:5]
	v_add_co_u32_e32 v2, vcc, 1, v4
	v_addc_co_u32_e32 v3, vcc, 0, v5, vcc
	v_pk_mov_b32 v[4:5], v[2:3], v[2:3] op_sel:[0,1]
	s_waitcnt vmcnt(0) lgkmcnt(0)
	v_cmp_eq_u16_e32 vcc, 0, v8
	s_or_b64 s[4:5], vcc, s[4:5]
	s_andn2_b64 exec, exec, s[4:5]
	s_cbranch_execnz .LBB1_280
; %bb.281:
	s_or_b64 exec, exec, s[4:5]
	s_mov_b64 s[6:7], 0
	v_cmp_ne_u64_e32 vcc, 0, v[36:37]
	s_and_saveexec_b64 s[4:5], vcc
	s_xor_b64 s[12:13], exec, s[4:5]
	s_cbranch_execz .LBB1_367
; %bb.282:
	v_sub_u32_e32 v28, v2, v36
	v_ashrrev_i32_e32 v29, 31, v28
	v_and_b32_e32 v30, 2, v0
	v_mov_b32_e32 v33, 0
	v_and_b32_e32 v0, -3, v0
	s_mov_b32 s22, 0
	s_movk_i32 s23, 0xff1f
	v_mov_b32_e32 v4, 2
	v_mov_b32_e32 v5, 1
	s_branch .LBB1_284
.LBB1_283:                              ;   in Loop: Header=BB1_284 Depth=1
	s_or_b64 exec, exec, s[16:17]
	v_sub_co_u32_e32 v28, vcc, v28, v34
	v_subb_co_u32_e32 v29, vcc, v29, v35, vcc
	v_cmp_eq_u64_e32 vcc, 0, v[28:29]
	s_or_b64 s[6:7], vcc, s[6:7]
	v_add_co_u32_e32 v36, vcc, v36, v34
	v_addc_co_u32_e32 v37, vcc, v37, v35, vcc
	s_andn2_b64 exec, exec, s[6:7]
	s_cbranch_execz .LBB1_366
.LBB1_284:                              ; =>This Loop Header: Depth=1
                                        ;     Child Loop BB1_287 Depth 2
                                        ;     Child Loop BB1_295 Depth 2
	;; [unrolled: 1-line block ×11, first 2 shown]
	v_cmp_gt_u64_e32 vcc, 56, v[28:29]
	v_cndmask_b32_e32 v35, 0, v29, vcc
	v_cndmask_b32_e32 v34, 56, v28, vcc
	v_cmp_gt_u64_e32 vcc, 8, v[28:29]
                                        ; implicit-def: $vgpr10_vgpr11
                                        ; implicit-def: $sgpr14
	s_and_saveexec_b64 s[4:5], vcc
	s_xor_b64 s[4:5], exec, s[4:5]
	s_cbranch_execz .LBB1_290
; %bb.285:                              ;   in Loop: Header=BB1_284 Depth=1
	s_mov_b64 s[16:17], 0
	v_cmp_ne_u64_e32 vcc, 0, v[28:29]
	v_pk_mov_b32 v[10:11], 0, 0
	s_and_saveexec_b64 s[14:15], vcc
	s_cbranch_execz .LBB1_289
; %bb.286:                              ;   in Loop: Header=BB1_284 Depth=1
	s_waitcnt vmcnt(0)
	v_lshlrev_b64 v[2:3], 3, v[34:35]
	v_pk_mov_b32 v[10:11], 0, 0
	v_pk_mov_b32 v[8:9], v[36:37], v[36:37] op_sel:[0,1]
	s_mov_b64 s[18:19], 0
.LBB1_287:                              ;   Parent Loop BB1_284 Depth=1
                                        ; =>  This Inner Loop Header: Depth=2
	flat_load_ubyte v3, v[8:9]
	v_mov_b32_e32 v13, s22
	v_add_co_u32_e32 v8, vcc, 1, v8
	v_addc_co_u32_e32 v9, vcc, 0, v9, vcc
	s_waitcnt vmcnt(0) lgkmcnt(0)
	v_and_b32_e32 v12, 0xffff, v3
	v_lshlrev_b64 v[12:13], s18, v[12:13]
	s_add_u32 s18, s18, 8
	s_addc_u32 s19, s19, 0
	v_cmp_eq_u32_e32 vcc, s18, v2
	v_or_b32_e32 v11, v13, v11
	s_or_b64 s[16:17], vcc, s[16:17]
	v_or_b32_e32 v10, v12, v10
	s_andn2_b64 exec, exec, s[16:17]
	s_cbranch_execnz .LBB1_287
; %bb.288:                              ;   in Loop: Header=BB1_284 Depth=1
	s_or_b64 exec, exec, s[16:17]
.LBB1_289:                              ;   in Loop: Header=BB1_284 Depth=1
	s_or_b64 exec, exec, s[14:15]
	s_mov_b32 s14, 0
.LBB1_290:                              ;   in Loop: Header=BB1_284 Depth=1
	s_or_saveexec_b64 s[4:5], s[4:5]
	v_mov_b32_e32 v8, s14
	s_waitcnt vmcnt(0)
	v_pk_mov_b32 v[2:3], v[36:37], v[36:37] op_sel:[0,1]
	s_xor_b64 exec, exec, s[4:5]
	s_cbranch_execz .LBB1_292
; %bb.291:                              ;   in Loop: Header=BB1_284 Depth=1
	flat_load_dwordx2 v[2:3], v[36:37]
	v_add_u32_e32 v8, -8, v34
	s_waitcnt vmcnt(0) lgkmcnt(0)
	v_and_b32_e32 v9, 0xff, v3
	v_and_b32_e32 v11, 0xff00, v3
	;; [unrolled: 1-line block ×4, first 2 shown]
	v_or3_b32 v10, v2, 0, 0
	v_or_b32_e32 v2, v9, v11
	v_or3_b32 v11, v2, v12, v3
	v_add_co_u32_e32 v2, vcc, 8, v36
	v_addc_co_u32_e32 v3, vcc, 0, v37, vcc
.LBB1_292:                              ;   in Loop: Header=BB1_284 Depth=1
	s_or_b64 exec, exec, s[4:5]
	v_cmp_gt_u32_e32 vcc, 8, v8
                                        ; implicit-def: $vgpr12_vgpr13
                                        ; implicit-def: $sgpr14
	s_and_saveexec_b64 s[4:5], vcc
	s_xor_b64 s[4:5], exec, s[4:5]
	s_cbranch_execz .LBB1_298
; %bb.293:                              ;   in Loop: Header=BB1_284 Depth=1
	v_cmp_ne_u32_e32 vcc, 0, v8
	v_pk_mov_b32 v[12:13], 0, 0
	s_and_saveexec_b64 s[14:15], vcc
	s_cbranch_execz .LBB1_297
; %bb.294:                              ;   in Loop: Header=BB1_284 Depth=1
	s_mov_b64 s[16:17], 0
	v_pk_mov_b32 v[12:13], 0, 0
	s_mov_b64 s[18:19], 0
	s_mov_b64 s[20:21], 0
.LBB1_295:                              ;   Parent Loop BB1_284 Depth=1
                                        ; =>  This Inner Loop Header: Depth=2
	v_mov_b32_e32 v9, s21
	v_add_co_u32_e32 v14, vcc, s20, v2
	v_addc_co_u32_e32 v15, vcc, v3, v9, vcc
	flat_load_ubyte v9, v[14:15]
	s_add_u32 s20, s20, 1
	v_mov_b32_e32 v15, s22
	s_addc_u32 s21, s21, 0
	v_cmp_eq_u32_e32 vcc, s20, v8
	s_waitcnt vmcnt(0) lgkmcnt(0)
	v_and_b32_e32 v14, 0xffff, v9
	v_lshlrev_b64 v[14:15], s18, v[14:15]
	s_add_u32 s18, s18, 8
	s_addc_u32 s19, s19, 0
	v_or_b32_e32 v13, v15, v13
	s_or_b64 s[16:17], vcc, s[16:17]
	v_or_b32_e32 v12, v14, v12
	s_andn2_b64 exec, exec, s[16:17]
	s_cbranch_execnz .LBB1_295
; %bb.296:                              ;   in Loop: Header=BB1_284 Depth=1
	s_or_b64 exec, exec, s[16:17]
.LBB1_297:                              ;   in Loop: Header=BB1_284 Depth=1
	s_or_b64 exec, exec, s[14:15]
	s_mov_b32 s14, 0
                                        ; implicit-def: $vgpr8
.LBB1_298:                              ;   in Loop: Header=BB1_284 Depth=1
	s_or_saveexec_b64 s[4:5], s[4:5]
	v_mov_b32_e32 v9, s14
	s_xor_b64 exec, exec, s[4:5]
	s_cbranch_execz .LBB1_300
; %bb.299:                              ;   in Loop: Header=BB1_284 Depth=1
	flat_load_dwordx2 v[12:13], v[2:3]
	v_add_u32_e32 v9, -8, v8
	v_add_co_u32_e32 v2, vcc, 8, v2
	v_addc_co_u32_e32 v3, vcc, 0, v3, vcc
	s_waitcnt vmcnt(0) lgkmcnt(0)
	v_and_b32_e32 v8, 0xff, v13
	v_and_b32_e32 v14, 0xff00, v13
	;; [unrolled: 1-line block ×4, first 2 shown]
	v_or_b32_e32 v8, v8, v14
	v_or3_b32 v12, v12, 0, 0
	v_or3_b32 v13, v8, v15, v13
.LBB1_300:                              ;   in Loop: Header=BB1_284 Depth=1
	s_or_b64 exec, exec, s[4:5]
	v_cmp_gt_u32_e32 vcc, 8, v9
                                        ; implicit-def: $sgpr14
	s_and_saveexec_b64 s[4:5], vcc
	s_xor_b64 s[4:5], exec, s[4:5]
	s_cbranch_execz .LBB1_306
; %bb.301:                              ;   in Loop: Header=BB1_284 Depth=1
	v_cmp_ne_u32_e32 vcc, 0, v9
	v_pk_mov_b32 v[14:15], 0, 0
	s_and_saveexec_b64 s[14:15], vcc
	s_cbranch_execz .LBB1_305
; %bb.302:                              ;   in Loop: Header=BB1_284 Depth=1
	s_mov_b64 s[16:17], 0
	v_pk_mov_b32 v[14:15], 0, 0
	s_mov_b64 s[18:19], 0
	s_mov_b64 s[20:21], 0
.LBB1_303:                              ;   Parent Loop BB1_284 Depth=1
                                        ; =>  This Inner Loop Header: Depth=2
	v_mov_b32_e32 v8, s21
	v_add_co_u32_e32 v16, vcc, s20, v2
	v_addc_co_u32_e32 v17, vcc, v3, v8, vcc
	flat_load_ubyte v8, v[16:17]
	s_add_u32 s20, s20, 1
	v_mov_b32_e32 v17, s22
	s_addc_u32 s21, s21, 0
	v_cmp_eq_u32_e32 vcc, s20, v9
	s_waitcnt vmcnt(0) lgkmcnt(0)
	v_and_b32_e32 v16, 0xffff, v8
	v_lshlrev_b64 v[16:17], s18, v[16:17]
	s_add_u32 s18, s18, 8
	s_addc_u32 s19, s19, 0
	v_or_b32_e32 v15, v17, v15
	s_or_b64 s[16:17], vcc, s[16:17]
	v_or_b32_e32 v14, v16, v14
	s_andn2_b64 exec, exec, s[16:17]
	s_cbranch_execnz .LBB1_303
; %bb.304:                              ;   in Loop: Header=BB1_284 Depth=1
	s_or_b64 exec, exec, s[16:17]
.LBB1_305:                              ;   in Loop: Header=BB1_284 Depth=1
	s_or_b64 exec, exec, s[14:15]
	s_mov_b32 s14, 0
                                        ; implicit-def: $vgpr9
.LBB1_306:                              ;   in Loop: Header=BB1_284 Depth=1
	s_or_saveexec_b64 s[4:5], s[4:5]
	v_mov_b32_e32 v8, s14
	s_xor_b64 exec, exec, s[4:5]
	s_cbranch_execz .LBB1_308
; %bb.307:                              ;   in Loop: Header=BB1_284 Depth=1
	flat_load_dwordx2 v[14:15], v[2:3]
	v_add_u32_e32 v8, -8, v9
	v_add_co_u32_e32 v2, vcc, 8, v2
	v_addc_co_u32_e32 v3, vcc, 0, v3, vcc
	s_waitcnt vmcnt(0) lgkmcnt(0)
	v_and_b32_e32 v9, 0xff, v15
	v_and_b32_e32 v16, 0xff00, v15
	v_and_b32_e32 v17, 0xff0000, v15
	v_and_b32_e32 v15, 0xff000000, v15
	v_or_b32_e32 v9, v9, v16
	v_or3_b32 v14, v14, 0, 0
	v_or3_b32 v15, v9, v17, v15
.LBB1_308:                              ;   in Loop: Header=BB1_284 Depth=1
	s_or_b64 exec, exec, s[4:5]
	v_cmp_gt_u32_e32 vcc, 8, v8
                                        ; implicit-def: $vgpr16_vgpr17
                                        ; implicit-def: $sgpr14
	s_and_saveexec_b64 s[4:5], vcc
	s_xor_b64 s[4:5], exec, s[4:5]
	s_cbranch_execz .LBB1_314
; %bb.309:                              ;   in Loop: Header=BB1_284 Depth=1
	v_cmp_ne_u32_e32 vcc, 0, v8
	v_pk_mov_b32 v[16:17], 0, 0
	s_and_saveexec_b64 s[14:15], vcc
	s_cbranch_execz .LBB1_313
; %bb.310:                              ;   in Loop: Header=BB1_284 Depth=1
	s_mov_b64 s[16:17], 0
	v_pk_mov_b32 v[16:17], 0, 0
	s_mov_b64 s[18:19], 0
	s_mov_b64 s[20:21], 0
.LBB1_311:                              ;   Parent Loop BB1_284 Depth=1
                                        ; =>  This Inner Loop Header: Depth=2
	v_mov_b32_e32 v9, s21
	v_add_co_u32_e32 v18, vcc, s20, v2
	v_addc_co_u32_e32 v19, vcc, v3, v9, vcc
	flat_load_ubyte v9, v[18:19]
	s_add_u32 s20, s20, 1
	v_mov_b32_e32 v19, s22
	s_addc_u32 s21, s21, 0
	v_cmp_eq_u32_e32 vcc, s20, v8
	s_waitcnt vmcnt(0) lgkmcnt(0)
	v_and_b32_e32 v18, 0xffff, v9
	v_lshlrev_b64 v[18:19], s18, v[18:19]
	s_add_u32 s18, s18, 8
	s_addc_u32 s19, s19, 0
	v_or_b32_e32 v17, v19, v17
	s_or_b64 s[16:17], vcc, s[16:17]
	v_or_b32_e32 v16, v18, v16
	s_andn2_b64 exec, exec, s[16:17]
	s_cbranch_execnz .LBB1_311
; %bb.312:                              ;   in Loop: Header=BB1_284 Depth=1
	s_or_b64 exec, exec, s[16:17]
.LBB1_313:                              ;   in Loop: Header=BB1_284 Depth=1
	s_or_b64 exec, exec, s[14:15]
	s_mov_b32 s14, 0
                                        ; implicit-def: $vgpr8
.LBB1_314:                              ;   in Loop: Header=BB1_284 Depth=1
	s_or_saveexec_b64 s[4:5], s[4:5]
	v_mov_b32_e32 v9, s14
	s_xor_b64 exec, exec, s[4:5]
	s_cbranch_execz .LBB1_316
; %bb.315:                              ;   in Loop: Header=BB1_284 Depth=1
	flat_load_dwordx2 v[16:17], v[2:3]
	v_add_u32_e32 v9, -8, v8
	v_add_co_u32_e32 v2, vcc, 8, v2
	v_addc_co_u32_e32 v3, vcc, 0, v3, vcc
	s_waitcnt vmcnt(0) lgkmcnt(0)
	v_and_b32_e32 v8, 0xff, v17
	v_and_b32_e32 v18, 0xff00, v17
	;; [unrolled: 1-line block ×4, first 2 shown]
	v_or_b32_e32 v8, v8, v18
	v_or3_b32 v16, v16, 0, 0
	v_or3_b32 v17, v8, v19, v17
.LBB1_316:                              ;   in Loop: Header=BB1_284 Depth=1
	s_or_b64 exec, exec, s[4:5]
	v_cmp_gt_u32_e32 vcc, 8, v9
                                        ; implicit-def: $sgpr14
	s_and_saveexec_b64 s[4:5], vcc
	s_xor_b64 s[4:5], exec, s[4:5]
	s_cbranch_execz .LBB1_322
; %bb.317:                              ;   in Loop: Header=BB1_284 Depth=1
	v_cmp_ne_u32_e32 vcc, 0, v9
	v_pk_mov_b32 v[18:19], 0, 0
	s_and_saveexec_b64 s[14:15], vcc
	s_cbranch_execz .LBB1_321
; %bb.318:                              ;   in Loop: Header=BB1_284 Depth=1
	s_mov_b64 s[16:17], 0
	v_pk_mov_b32 v[18:19], 0, 0
	s_mov_b64 s[18:19], 0
	s_mov_b64 s[20:21], 0
.LBB1_319:                              ;   Parent Loop BB1_284 Depth=1
                                        ; =>  This Inner Loop Header: Depth=2
	v_mov_b32_e32 v8, s21
	v_add_co_u32_e32 v20, vcc, s20, v2
	v_addc_co_u32_e32 v21, vcc, v3, v8, vcc
	flat_load_ubyte v8, v[20:21]
	s_add_u32 s20, s20, 1
	v_mov_b32_e32 v21, s22
	s_addc_u32 s21, s21, 0
	v_cmp_eq_u32_e32 vcc, s20, v9
	s_waitcnt vmcnt(0) lgkmcnt(0)
	v_and_b32_e32 v20, 0xffff, v8
	v_lshlrev_b64 v[20:21], s18, v[20:21]
	s_add_u32 s18, s18, 8
	s_addc_u32 s19, s19, 0
	v_or_b32_e32 v19, v21, v19
	s_or_b64 s[16:17], vcc, s[16:17]
	v_or_b32_e32 v18, v20, v18
	s_andn2_b64 exec, exec, s[16:17]
	s_cbranch_execnz .LBB1_319
; %bb.320:                              ;   in Loop: Header=BB1_284 Depth=1
	s_or_b64 exec, exec, s[16:17]
.LBB1_321:                              ;   in Loop: Header=BB1_284 Depth=1
	s_or_b64 exec, exec, s[14:15]
	s_mov_b32 s14, 0
                                        ; implicit-def: $vgpr9
.LBB1_322:                              ;   in Loop: Header=BB1_284 Depth=1
	s_or_saveexec_b64 s[4:5], s[4:5]
	v_mov_b32_e32 v8, s14
	s_xor_b64 exec, exec, s[4:5]
	s_cbranch_execz .LBB1_324
; %bb.323:                              ;   in Loop: Header=BB1_284 Depth=1
	flat_load_dwordx2 v[18:19], v[2:3]
	v_add_u32_e32 v8, -8, v9
	v_add_co_u32_e32 v2, vcc, 8, v2
	v_addc_co_u32_e32 v3, vcc, 0, v3, vcc
	s_waitcnt vmcnt(0) lgkmcnt(0)
	v_and_b32_e32 v9, 0xff, v19
	v_and_b32_e32 v20, 0xff00, v19
	;; [unrolled: 1-line block ×4, first 2 shown]
	v_or_b32_e32 v9, v9, v20
	v_or3_b32 v18, v18, 0, 0
	v_or3_b32 v19, v9, v21, v19
.LBB1_324:                              ;   in Loop: Header=BB1_284 Depth=1
	s_or_b64 exec, exec, s[4:5]
	v_cmp_gt_u32_e32 vcc, 8, v8
                                        ; implicit-def: $vgpr20_vgpr21
                                        ; implicit-def: $sgpr14
	s_and_saveexec_b64 s[4:5], vcc
	s_xor_b64 s[4:5], exec, s[4:5]
	s_cbranch_execz .LBB1_330
; %bb.325:                              ;   in Loop: Header=BB1_284 Depth=1
	v_cmp_ne_u32_e32 vcc, 0, v8
	v_pk_mov_b32 v[20:21], 0, 0
	s_and_saveexec_b64 s[14:15], vcc
	s_cbranch_execz .LBB1_329
; %bb.326:                              ;   in Loop: Header=BB1_284 Depth=1
	s_mov_b64 s[16:17], 0
	v_pk_mov_b32 v[20:21], 0, 0
	s_mov_b64 s[18:19], 0
	s_mov_b64 s[20:21], 0
.LBB1_327:                              ;   Parent Loop BB1_284 Depth=1
                                        ; =>  This Inner Loop Header: Depth=2
	v_mov_b32_e32 v9, s21
	v_add_co_u32_e32 v22, vcc, s20, v2
	v_addc_co_u32_e32 v23, vcc, v3, v9, vcc
	flat_load_ubyte v9, v[22:23]
	s_add_u32 s20, s20, 1
	v_mov_b32_e32 v23, s22
	s_addc_u32 s21, s21, 0
	v_cmp_eq_u32_e32 vcc, s20, v8
	s_waitcnt vmcnt(0) lgkmcnt(0)
	v_and_b32_e32 v22, 0xffff, v9
	v_lshlrev_b64 v[22:23], s18, v[22:23]
	s_add_u32 s18, s18, 8
	s_addc_u32 s19, s19, 0
	v_or_b32_e32 v21, v23, v21
	s_or_b64 s[16:17], vcc, s[16:17]
	v_or_b32_e32 v20, v22, v20
	s_andn2_b64 exec, exec, s[16:17]
	s_cbranch_execnz .LBB1_327
; %bb.328:                              ;   in Loop: Header=BB1_284 Depth=1
	s_or_b64 exec, exec, s[16:17]
.LBB1_329:                              ;   in Loop: Header=BB1_284 Depth=1
	s_or_b64 exec, exec, s[14:15]
	s_mov_b32 s14, 0
                                        ; implicit-def: $vgpr8
.LBB1_330:                              ;   in Loop: Header=BB1_284 Depth=1
	s_or_saveexec_b64 s[4:5], s[4:5]
	v_mov_b32_e32 v9, s14
	s_xor_b64 exec, exec, s[4:5]
	s_cbranch_execz .LBB1_332
; %bb.331:                              ;   in Loop: Header=BB1_284 Depth=1
	flat_load_dwordx2 v[20:21], v[2:3]
	v_add_u32_e32 v9, -8, v8
	v_add_co_u32_e32 v2, vcc, 8, v2
	v_addc_co_u32_e32 v3, vcc, 0, v3, vcc
	s_waitcnt vmcnt(0) lgkmcnt(0)
	v_and_b32_e32 v8, 0xff, v21
	v_and_b32_e32 v22, 0xff00, v21
	;; [unrolled: 1-line block ×4, first 2 shown]
	v_or_b32_e32 v8, v8, v22
	v_or3_b32 v20, v20, 0, 0
	v_or3_b32 v21, v8, v23, v21
.LBB1_332:                              ;   in Loop: Header=BB1_284 Depth=1
	s_or_b64 exec, exec, s[4:5]
	v_cmp_gt_u32_e32 vcc, 8, v9
	s_and_saveexec_b64 s[4:5], vcc
	s_xor_b64 s[4:5], exec, s[4:5]
	s_cbranch_execz .LBB1_338
; %bb.333:                              ;   in Loop: Header=BB1_284 Depth=1
	v_cmp_ne_u32_e32 vcc, 0, v9
	v_pk_mov_b32 v[22:23], 0, 0
	s_and_saveexec_b64 s[14:15], vcc
	s_cbranch_execz .LBB1_337
; %bb.334:                              ;   in Loop: Header=BB1_284 Depth=1
	s_mov_b64 s[16:17], 0
	v_pk_mov_b32 v[22:23], 0, 0
	s_mov_b64 s[18:19], 0
.LBB1_335:                              ;   Parent Loop BB1_284 Depth=1
                                        ; =>  This Inner Loop Header: Depth=2
	flat_load_ubyte v8, v[2:3]
	v_mov_b32_e32 v25, s22
	v_add_co_u32_e32 v2, vcc, 1, v2
	v_add_u32_e32 v9, -1, v9
	v_addc_co_u32_e32 v3, vcc, 0, v3, vcc
	v_cmp_eq_u32_e32 vcc, 0, v9
	s_waitcnt vmcnt(0) lgkmcnt(0)
	v_and_b32_e32 v24, 0xffff, v8
	v_lshlrev_b64 v[24:25], s18, v[24:25]
	s_add_u32 s18, s18, 8
	s_addc_u32 s19, s19, 0
	v_or_b32_e32 v23, v25, v23
	s_or_b64 s[16:17], vcc, s[16:17]
	v_or_b32_e32 v22, v24, v22
	s_andn2_b64 exec, exec, s[16:17]
	s_cbranch_execnz .LBB1_335
; %bb.336:                              ;   in Loop: Header=BB1_284 Depth=1
	s_or_b64 exec, exec, s[16:17]
.LBB1_337:                              ;   in Loop: Header=BB1_284 Depth=1
	s_or_b64 exec, exec, s[14:15]
                                        ; implicit-def: $vgpr2_vgpr3
.LBB1_338:                              ;   in Loop: Header=BB1_284 Depth=1
	s_andn2_saveexec_b64 s[4:5], s[4:5]
	s_cbranch_execz .LBB1_340
; %bb.339:                              ;   in Loop: Header=BB1_284 Depth=1
	flat_load_dwordx2 v[2:3], v[2:3]
	s_waitcnt vmcnt(0) lgkmcnt(0)
	v_and_b32_e32 v8, 0xff, v3
	v_and_b32_e32 v9, 0xff00, v3
	;; [unrolled: 1-line block ×4, first 2 shown]
	v_or_b32_e32 v8, v8, v9
	v_or3_b32 v23, v8, v22, v3
	v_or3_b32 v22, v2, 0, 0
.LBB1_340:                              ;   in Loop: Header=BB1_284 Depth=1
	s_or_b64 exec, exec, s[4:5]
	v_readfirstlane_b32 s4, v49
	v_cmp_eq_u32_e64 s[4:5], s4, v49
	v_pk_mov_b32 v[2:3], 0, 0
	s_and_saveexec_b64 s[14:15], s[4:5]
	s_cbranch_execz .LBB1_346
; %bb.341:                              ;   in Loop: Header=BB1_284 Depth=1
	global_load_dwordx2 v[26:27], v33, s[10:11] offset:24 glc
	s_waitcnt vmcnt(0)
	buffer_invl2
	buffer_wbinvl1_vol
	global_load_dwordx2 v[2:3], v33, s[10:11] offset:40
	global_load_dwordx2 v[8:9], v33, s[10:11]
	s_waitcnt vmcnt(1)
	v_and_b32_e32 v2, v2, v26
	v_and_b32_e32 v3, v3, v27
	v_mul_lo_u32 v3, v3, 24
	v_mul_hi_u32 v24, v2, 24
	v_mul_lo_u32 v2, v2, 24
	v_add_u32_e32 v3, v24, v3
	s_waitcnt vmcnt(0)
	v_add_co_u32_e32 v2, vcc, v8, v2
	v_addc_co_u32_e32 v3, vcc, v9, v3, vcc
	global_load_dwordx2 v[24:25], v[2:3], off glc
	s_waitcnt vmcnt(0)
	global_atomic_cmpswap_x2 v[2:3], v33, v[24:27], s[10:11] offset:24 glc
	s_waitcnt vmcnt(0)
	buffer_invl2
	buffer_wbinvl1_vol
	v_cmp_ne_u64_e32 vcc, v[2:3], v[26:27]
	s_and_saveexec_b64 s[16:17], vcc
	s_cbranch_execz .LBB1_345
; %bb.342:                              ;   in Loop: Header=BB1_284 Depth=1
	s_mov_b64 s[18:19], 0
.LBB1_343:                              ;   Parent Loop BB1_284 Depth=1
                                        ; =>  This Inner Loop Header: Depth=2
	s_sleep 1
	global_load_dwordx2 v[8:9], v33, s[10:11] offset:40
	global_load_dwordx2 v[24:25], v33, s[10:11]
	v_pk_mov_b32 v[26:27], v[2:3], v[2:3] op_sel:[0,1]
	s_waitcnt vmcnt(1)
	v_and_b32_e32 v2, v8, v26
	s_waitcnt vmcnt(0)
	v_mad_u64_u32 v[2:3], s[20:21], v2, 24, v[24:25]
	v_and_b32_e32 v9, v9, v27
	v_mov_b32_e32 v8, v3
	v_mad_u64_u32 v[8:9], s[20:21], v9, 24, v[8:9]
	v_mov_b32_e32 v3, v8
	global_load_dwordx2 v[24:25], v[2:3], off glc
	s_waitcnt vmcnt(0)
	global_atomic_cmpswap_x2 v[2:3], v33, v[24:27], s[10:11] offset:24 glc
	s_waitcnt vmcnt(0)
	buffer_invl2
	buffer_wbinvl1_vol
	v_cmp_eq_u64_e32 vcc, v[2:3], v[26:27]
	s_or_b64 s[18:19], vcc, s[18:19]
	s_andn2_b64 exec, exec, s[18:19]
	s_cbranch_execnz .LBB1_343
; %bb.344:                              ;   in Loop: Header=BB1_284 Depth=1
	s_or_b64 exec, exec, s[18:19]
.LBB1_345:                              ;   in Loop: Header=BB1_284 Depth=1
	s_or_b64 exec, exec, s[16:17]
.LBB1_346:                              ;   in Loop: Header=BB1_284 Depth=1
	s_or_b64 exec, exec, s[14:15]
	global_load_dwordx2 v[8:9], v33, s[10:11] offset:40
	global_load_dwordx4 v[24:27], v33, s[10:11]
	v_readfirstlane_b32 s14, v2
	v_readfirstlane_b32 s15, v3
	s_mov_b64 s[16:17], exec
	s_waitcnt vmcnt(1)
	v_readfirstlane_b32 s18, v8
	v_readfirstlane_b32 s19, v9
	s_and_b64 s[18:19], s[14:15], s[18:19]
	s_mul_i32 s20, s19, 24
	s_mul_hi_u32 s21, s18, 24
	s_mul_i32 s24, s18, 24
	s_add_i32 s20, s21, s20
	v_mov_b32_e32 v2, s20
	s_waitcnt vmcnt(0)
	v_add_co_u32_e32 v38, vcc, s24, v24
	v_addc_co_u32_e32 v39, vcc, v25, v2, vcc
	s_and_saveexec_b64 s[20:21], s[4:5]
	s_cbranch_execz .LBB1_348
; %bb.347:                              ;   in Loop: Header=BB1_284 Depth=1
	v_pk_mov_b32 v[2:3], s[16:17], s[16:17] op_sel:[0,1]
	global_store_dwordx4 v[38:39], v[2:5], off offset:8
.LBB1_348:                              ;   in Loop: Header=BB1_284 Depth=1
	s_or_b64 exec, exec, s[20:21]
	s_lshl_b64 s[16:17], s[18:19], 12
	v_mov_b32_e32 v2, s17
	v_add_co_u32_e32 v26, vcc, s16, v26
	v_addc_co_u32_e32 v27, vcc, v27, v2, vcc
	v_or_b32_e32 v2, 0, v1
	v_cmp_lt_u64_e32 vcc, 56, v[28:29]
	v_or_b32_e32 v3, v0, v30
	v_cndmask_b32_e32 v9, v2, v1, vcc
	v_lshl_add_u32 v1, v34, 2, 28
	v_cndmask_b32_e32 v0, v3, v0, vcc
	v_and_b32_e32 v1, 0x1e0, v1
	v_and_or_b32 v8, v0, s23, v1
	v_readfirstlane_b32 s16, v26
	v_readfirstlane_b32 s17, v27
	s_nop 4
	global_store_dwordx4 v48, v[8:11], s[16:17]
	global_store_dwordx4 v48, v[12:15], s[16:17] offset:16
	global_store_dwordx4 v48, v[16:19], s[16:17] offset:32
	;; [unrolled: 1-line block ×3, first 2 shown]
	s_and_saveexec_b64 s[16:17], s[4:5]
	s_cbranch_execz .LBB1_356
; %bb.349:                              ;   in Loop: Header=BB1_284 Depth=1
	global_load_dwordx2 v[12:13], v33, s[10:11] offset:32 glc
	global_load_dwordx2 v[0:1], v33, s[10:11] offset:40
	v_mov_b32_e32 v10, s14
	v_mov_b32_e32 v11, s15
	s_waitcnt vmcnt(0)
	v_readfirstlane_b32 s18, v0
	v_readfirstlane_b32 s19, v1
	s_and_b64 s[18:19], s[18:19], s[14:15]
	s_mul_i32 s19, s19, 24
	s_mul_hi_u32 s20, s18, 24
	s_mul_i32 s18, s18, 24
	s_add_i32 s19, s20, s19
	v_mov_b32_e32 v0, s19
	v_add_co_u32_e32 v8, vcc, s18, v24
	v_addc_co_u32_e32 v9, vcc, v25, v0, vcc
	global_store_dwordx2 v[8:9], v[12:13], off
	buffer_wbl2
	s_waitcnt vmcnt(0)
	global_atomic_cmpswap_x2 v[2:3], v33, v[10:13], s[10:11] offset:32 glc
	s_waitcnt vmcnt(0)
	v_cmp_ne_u64_e32 vcc, v[2:3], v[12:13]
	s_and_saveexec_b64 s[18:19], vcc
	s_cbranch_execz .LBB1_352
; %bb.350:                              ;   in Loop: Header=BB1_284 Depth=1
	s_mov_b64 s[20:21], 0
.LBB1_351:                              ;   Parent Loop BB1_284 Depth=1
                                        ; =>  This Inner Loop Header: Depth=2
	s_sleep 1
	global_store_dwordx2 v[8:9], v[2:3], off
	v_mov_b32_e32 v0, s14
	v_mov_b32_e32 v1, s15
	buffer_wbl2
	s_waitcnt vmcnt(0)
	global_atomic_cmpswap_x2 v[0:1], v33, v[0:3], s[10:11] offset:32 glc
	s_waitcnt vmcnt(0)
	v_cmp_eq_u64_e32 vcc, v[0:1], v[2:3]
	s_or_b64 s[20:21], vcc, s[20:21]
	v_pk_mov_b32 v[2:3], v[0:1], v[0:1] op_sel:[0,1]
	s_andn2_b64 exec, exec, s[20:21]
	s_cbranch_execnz .LBB1_351
.LBB1_352:                              ;   in Loop: Header=BB1_284 Depth=1
	s_or_b64 exec, exec, s[18:19]
	global_load_dwordx2 v[0:1], v33, s[10:11] offset:16
	s_mov_b64 s[20:21], exec
	v_mbcnt_lo_u32_b32 v2, s20, 0
	v_mbcnt_hi_u32_b32 v2, s21, v2
	v_cmp_eq_u32_e32 vcc, 0, v2
	s_and_saveexec_b64 s[18:19], vcc
	s_cbranch_execz .LBB1_354
; %bb.353:                              ;   in Loop: Header=BB1_284 Depth=1
	s_bcnt1_i32_b64 s20, s[20:21]
	v_mov_b32_e32 v32, s20
	buffer_wbl2
	s_waitcnt vmcnt(0)
	global_atomic_add_x2 v[0:1], v[32:33], off offset:8
.LBB1_354:                              ;   in Loop: Header=BB1_284 Depth=1
	s_or_b64 exec, exec, s[18:19]
	s_waitcnt vmcnt(0)
	global_load_dwordx2 v[2:3], v[0:1], off offset:16
	s_waitcnt vmcnt(0)
	v_cmp_eq_u64_e32 vcc, 0, v[2:3]
	s_cbranch_vccnz .LBB1_356
; %bb.355:                              ;   in Loop: Header=BB1_284 Depth=1
	global_load_dword v32, v[0:1], off offset:24
	s_waitcnt vmcnt(0)
	v_and_b32_e32 v0, 0xffffff, v32
	v_readfirstlane_b32 m0, v0
	buffer_wbl2
	global_store_dwordx2 v[2:3], v[32:33], off
	s_sendmsg sendmsg(MSG_INTERRUPT)
.LBB1_356:                              ;   in Loop: Header=BB1_284 Depth=1
	s_or_b64 exec, exec, s[16:17]
	v_add_co_u32_e32 v0, vcc, v26, v48
	v_addc_co_u32_e32 v1, vcc, 0, v27, vcc
	s_branch .LBB1_360
.LBB1_357:                              ;   in Loop: Header=BB1_360 Depth=2
	s_or_b64 exec, exec, s[16:17]
	v_readfirstlane_b32 s16, v2
	s_cmp_eq_u32 s16, 0
	s_cbranch_scc1 .LBB1_359
; %bb.358:                              ;   in Loop: Header=BB1_360 Depth=2
	s_sleep 1
	s_cbranch_execnz .LBB1_360
	s_branch .LBB1_362
.LBB1_359:                              ;   in Loop: Header=BB1_284 Depth=1
	s_branch .LBB1_362
.LBB1_360:                              ;   Parent Loop BB1_284 Depth=1
                                        ; =>  This Inner Loop Header: Depth=2
	v_mov_b32_e32 v2, 1
	s_and_saveexec_b64 s[16:17], s[4:5]
	s_cbranch_execz .LBB1_357
; %bb.361:                              ;   in Loop: Header=BB1_360 Depth=2
	global_load_dword v2, v[38:39], off offset:20 glc
	s_waitcnt vmcnt(0)
	buffer_invl2
	buffer_wbinvl1_vol
	v_and_b32_e32 v2, 1, v2
	s_branch .LBB1_357
.LBB1_362:                              ;   in Loop: Header=BB1_284 Depth=1
	global_load_dwordx4 v[0:3], v[0:1], off
	s_and_saveexec_b64 s[16:17], s[4:5]
	s_cbranch_execz .LBB1_283
; %bb.363:                              ;   in Loop: Header=BB1_284 Depth=1
	global_load_dwordx2 v[2:3], v33, s[10:11] offset:40
	global_load_dwordx2 v[12:13], v33, s[10:11] offset:24 glc
	global_load_dwordx2 v[14:15], v33, s[10:11]
	v_mov_b32_e32 v9, s15
	s_waitcnt vmcnt(2)
	v_add_co_u32_e32 v11, vcc, 1, v2
	v_addc_co_u32_e32 v16, vcc, 0, v3, vcc
	v_add_co_u32_e32 v8, vcc, s14, v11
	v_addc_co_u32_e32 v9, vcc, v16, v9, vcc
	v_cmp_eq_u64_e32 vcc, 0, v[8:9]
	v_cndmask_b32_e32 v9, v9, v16, vcc
	v_cndmask_b32_e32 v8, v8, v11, vcc
	v_and_b32_e32 v3, v9, v3
	v_and_b32_e32 v2, v8, v2
	v_mul_lo_u32 v3, v3, 24
	v_mul_hi_u32 v11, v2, 24
	v_mul_lo_u32 v2, v2, 24
	v_add_u32_e32 v3, v11, v3
	s_waitcnt vmcnt(0)
	v_add_co_u32_e32 v2, vcc, v14, v2
	v_addc_co_u32_e32 v3, vcc, v15, v3, vcc
	v_mov_b32_e32 v10, v12
	global_store_dwordx2 v[2:3], v[12:13], off
	v_mov_b32_e32 v11, v13
	buffer_wbl2
	s_waitcnt vmcnt(0)
	global_atomic_cmpswap_x2 v[10:11], v33, v[8:11], s[10:11] offset:24 glc
	s_waitcnt vmcnt(0)
	v_cmp_ne_u64_e32 vcc, v[10:11], v[12:13]
	s_and_b64 exec, exec, vcc
	s_cbranch_execz .LBB1_283
; %bb.364:                              ;   in Loop: Header=BB1_284 Depth=1
	s_mov_b64 s[4:5], 0
.LBB1_365:                              ;   Parent Loop BB1_284 Depth=1
                                        ; =>  This Inner Loop Header: Depth=2
	s_sleep 1
	global_store_dwordx2 v[2:3], v[10:11], off
	buffer_wbl2
	s_waitcnt vmcnt(0)
	global_atomic_cmpswap_x2 v[12:13], v33, v[8:11], s[10:11] offset:24 glc
	s_waitcnt vmcnt(0)
	v_cmp_eq_u64_e32 vcc, v[12:13], v[10:11]
	s_or_b64 s[4:5], vcc, s[4:5]
	v_pk_mov_b32 v[10:11], v[12:13], v[12:13] op_sel:[0,1]
	s_andn2_b64 exec, exec, s[4:5]
	s_cbranch_execnz .LBB1_365
	s_branch .LBB1_283
.LBB1_366:
	s_or_b64 exec, exec, s[6:7]
                                        ; implicit-def: $vgpr48
                                        ; implicit-def: $vgpr49
.LBB1_367:
	s_andn2_saveexec_b64 s[6:7], s[12:13]
	s_cbranch_execz .LBB1_394
; %bb.368:
	v_readfirstlane_b32 s4, v49
	v_cmp_eq_u32_e64 s[4:5], s4, v49
	v_pk_mov_b32 v[4:5], 0, 0
	s_and_saveexec_b64 s[12:13], s[4:5]
	s_cbranch_execz .LBB1_374
; %bb.369:
	s_waitcnt vmcnt(0)
	v_mov_b32_e32 v2, 0
	global_load_dwordx2 v[10:11], v2, s[10:11] offset:24 glc
	s_waitcnt vmcnt(0)
	buffer_invl2
	buffer_wbinvl1_vol
	global_load_dwordx2 v[4:5], v2, s[10:11] offset:40
	global_load_dwordx2 v[8:9], v2, s[10:11]
	s_waitcnt vmcnt(1)
	v_and_b32_e32 v3, v4, v10
	v_and_b32_e32 v4, v5, v11
	v_mul_lo_u32 v4, v4, 24
	v_mul_hi_u32 v5, v3, 24
	v_mul_lo_u32 v3, v3, 24
	v_add_u32_e32 v5, v5, v4
	s_waitcnt vmcnt(0)
	v_add_co_u32_e32 v4, vcc, v8, v3
	v_addc_co_u32_e32 v5, vcc, v9, v5, vcc
	global_load_dwordx2 v[8:9], v[4:5], off glc
	s_waitcnt vmcnt(0)
	global_atomic_cmpswap_x2 v[4:5], v2, v[8:11], s[10:11] offset:24 glc
	s_waitcnt vmcnt(0)
	buffer_invl2
	buffer_wbinvl1_vol
	v_cmp_ne_u64_e32 vcc, v[4:5], v[10:11]
	s_and_saveexec_b64 s[14:15], vcc
	s_cbranch_execz .LBB1_373
; %bb.370:
	s_mov_b64 s[16:17], 0
.LBB1_371:                              ; =>This Inner Loop Header: Depth=1
	s_sleep 1
	global_load_dwordx2 v[8:9], v2, s[10:11] offset:40
	global_load_dwordx2 v[12:13], v2, s[10:11]
	v_pk_mov_b32 v[10:11], v[4:5], v[4:5] op_sel:[0,1]
	s_waitcnt vmcnt(1)
	v_and_b32_e32 v4, v8, v10
	s_waitcnt vmcnt(0)
	v_mad_u64_u32 v[4:5], s[18:19], v4, 24, v[12:13]
	v_and_b32_e32 v3, v9, v11
	v_mov_b32_e32 v8, v5
	v_mad_u64_u32 v[8:9], s[18:19], v3, 24, v[8:9]
	v_mov_b32_e32 v5, v8
	global_load_dwordx2 v[8:9], v[4:5], off glc
	s_waitcnt vmcnt(0)
	global_atomic_cmpswap_x2 v[4:5], v2, v[8:11], s[10:11] offset:24 glc
	s_waitcnt vmcnt(0)
	buffer_invl2
	buffer_wbinvl1_vol
	v_cmp_eq_u64_e32 vcc, v[4:5], v[10:11]
	s_or_b64 s[16:17], vcc, s[16:17]
	s_andn2_b64 exec, exec, s[16:17]
	s_cbranch_execnz .LBB1_371
; %bb.372:
	s_or_b64 exec, exec, s[16:17]
.LBB1_373:
	s_or_b64 exec, exec, s[14:15]
.LBB1_374:
	s_or_b64 exec, exec, s[12:13]
	s_waitcnt vmcnt(0)
	v_mov_b32_e32 v2, 0
	global_load_dwordx2 v[12:13], v2, s[10:11] offset:40
	global_load_dwordx4 v[8:11], v2, s[10:11]
	v_readfirstlane_b32 s12, v4
	v_readfirstlane_b32 s13, v5
	s_mov_b64 s[14:15], exec
	s_waitcnt vmcnt(1)
	v_readfirstlane_b32 s16, v12
	v_readfirstlane_b32 s17, v13
	s_and_b64 s[16:17], s[12:13], s[16:17]
	s_mul_i32 s18, s17, 24
	s_mul_hi_u32 s19, s16, 24
	s_mul_i32 s20, s16, 24
	s_add_i32 s18, s19, s18
	v_mov_b32_e32 v3, s18
	s_waitcnt vmcnt(0)
	v_add_co_u32_e32 v4, vcc, s20, v8
	v_addc_co_u32_e32 v5, vcc, v9, v3, vcc
	s_and_saveexec_b64 s[18:19], s[4:5]
	s_cbranch_execz .LBB1_376
; %bb.375:
	v_pk_mov_b32 v[12:13], s[14:15], s[14:15] op_sel:[0,1]
	v_mov_b32_e32 v14, 2
	v_mov_b32_e32 v15, 1
	global_store_dwordx4 v[4:5], v[12:15], off offset:8
.LBB1_376:
	s_or_b64 exec, exec, s[18:19]
	s_lshl_b64 s[14:15], s[16:17], 12
	v_mov_b32_e32 v3, s15
	v_add_co_u32_e32 v12, vcc, s14, v10
	v_addc_co_u32_e32 v13, vcc, v11, v3, vcc
	s_movk_i32 s14, 0xff1f
	s_mov_b32 s16, 0
	v_and_or_b32 v0, v0, s14, 32
	v_mov_b32_e32 v3, v2
	v_readfirstlane_b32 s14, v12
	v_readfirstlane_b32 s15, v13
	s_mov_b32 s17, s16
	v_add_co_u32_e32 v10, vcc, v12, v48
	s_mov_b32 s18, s16
	s_mov_b32 s19, s16
	s_nop 0
	global_store_dwordx4 v48, v[0:3], s[14:15]
	v_addc_co_u32_e32 v11, vcc, 0, v13, vcc
	v_pk_mov_b32 v[0:1], s[16:17], s[16:17] op_sel:[0,1]
	v_pk_mov_b32 v[2:3], s[18:19], s[18:19] op_sel:[0,1]
	global_store_dwordx4 v48, v[0:3], s[14:15] offset:16
	global_store_dwordx4 v48, v[0:3], s[14:15] offset:32
	;; [unrolled: 1-line block ×3, first 2 shown]
	s_and_saveexec_b64 s[14:15], s[4:5]
	s_cbranch_execz .LBB1_384
; %bb.377:
	v_mov_b32_e32 v12, 0
	global_load_dwordx2 v[16:17], v12, s[10:11] offset:32 glc
	global_load_dwordx2 v[0:1], v12, s[10:11] offset:40
	v_mov_b32_e32 v14, s12
	v_mov_b32_e32 v15, s13
	s_waitcnt vmcnt(0)
	v_readfirstlane_b32 s16, v0
	v_readfirstlane_b32 s17, v1
	s_and_b64 s[16:17], s[16:17], s[12:13]
	s_mul_i32 s17, s17, 24
	s_mul_hi_u32 s18, s16, 24
	s_mul_i32 s16, s16, 24
	s_add_i32 s17, s18, s17
	v_mov_b32_e32 v0, s17
	v_add_co_u32_e32 v8, vcc, s16, v8
	v_addc_co_u32_e32 v9, vcc, v9, v0, vcc
	global_store_dwordx2 v[8:9], v[16:17], off
	buffer_wbl2
	s_waitcnt vmcnt(0)
	global_atomic_cmpswap_x2 v[2:3], v12, v[14:17], s[10:11] offset:32 glc
	s_waitcnt vmcnt(0)
	v_cmp_ne_u64_e32 vcc, v[2:3], v[16:17]
	s_and_saveexec_b64 s[16:17], vcc
	s_cbranch_execz .LBB1_380
; %bb.378:
	s_mov_b64 s[18:19], 0
.LBB1_379:                              ; =>This Inner Loop Header: Depth=1
	s_sleep 1
	global_store_dwordx2 v[8:9], v[2:3], off
	v_mov_b32_e32 v0, s12
	v_mov_b32_e32 v1, s13
	buffer_wbl2
	s_waitcnt vmcnt(0)
	global_atomic_cmpswap_x2 v[0:1], v12, v[0:3], s[10:11] offset:32 glc
	s_waitcnt vmcnt(0)
	v_cmp_eq_u64_e32 vcc, v[0:1], v[2:3]
	s_or_b64 s[18:19], vcc, s[18:19]
	v_pk_mov_b32 v[2:3], v[0:1], v[0:1] op_sel:[0,1]
	s_andn2_b64 exec, exec, s[18:19]
	s_cbranch_execnz .LBB1_379
.LBB1_380:
	s_or_b64 exec, exec, s[16:17]
	v_mov_b32_e32 v3, 0
	global_load_dwordx2 v[0:1], v3, s[10:11] offset:16
	s_mov_b64 s[16:17], exec
	v_mbcnt_lo_u32_b32 v2, s16, 0
	v_mbcnt_hi_u32_b32 v2, s17, v2
	v_cmp_eq_u32_e32 vcc, 0, v2
	s_and_saveexec_b64 s[18:19], vcc
	s_cbranch_execz .LBB1_382
; %bb.381:
	s_bcnt1_i32_b64 s16, s[16:17]
	v_mov_b32_e32 v2, s16
	buffer_wbl2
	s_waitcnt vmcnt(0)
	global_atomic_add_x2 v[0:1], v[2:3], off offset:8
.LBB1_382:
	s_or_b64 exec, exec, s[18:19]
	s_waitcnt vmcnt(0)
	global_load_dwordx2 v[2:3], v[0:1], off offset:16
	s_waitcnt vmcnt(0)
	v_cmp_eq_u64_e32 vcc, 0, v[2:3]
	s_cbranch_vccnz .LBB1_384
; %bb.383:
	global_load_dword v0, v[0:1], off offset:24
	v_mov_b32_e32 v1, 0
	buffer_wbl2
	s_waitcnt vmcnt(0)
	global_store_dwordx2 v[2:3], v[0:1], off
	v_and_b32_e32 v0, 0xffffff, v0
	v_readfirstlane_b32 m0, v0
	s_sendmsg sendmsg(MSG_INTERRUPT)
.LBB1_384:
	s_or_b64 exec, exec, s[14:15]
	s_branch .LBB1_388
.LBB1_385:                              ;   in Loop: Header=BB1_388 Depth=1
	s_or_b64 exec, exec, s[14:15]
	v_readfirstlane_b32 s14, v0
	s_cmp_eq_u32 s14, 0
	s_cbranch_scc1 .LBB1_387
; %bb.386:                              ;   in Loop: Header=BB1_388 Depth=1
	s_sleep 1
	s_cbranch_execnz .LBB1_388
	s_branch .LBB1_390
.LBB1_387:
	s_branch .LBB1_390
.LBB1_388:                              ; =>This Inner Loop Header: Depth=1
	v_mov_b32_e32 v0, 1
	s_and_saveexec_b64 s[14:15], s[4:5]
	s_cbranch_execz .LBB1_385
; %bb.389:                              ;   in Loop: Header=BB1_388 Depth=1
	global_load_dword v0, v[4:5], off offset:20 glc
	s_waitcnt vmcnt(0)
	buffer_invl2
	buffer_wbinvl1_vol
	v_and_b32_e32 v0, 1, v0
	s_branch .LBB1_385
.LBB1_390:
	global_load_dwordx2 v[0:1], v[10:11], off
	s_and_saveexec_b64 s[14:15], s[4:5]
	s_cbranch_execz .LBB1_393
; %bb.391:
	v_mov_b32_e32 v10, 0
	global_load_dwordx2 v[8:9], v10, s[10:11] offset:40
	global_load_dwordx2 v[12:13], v10, s[10:11] offset:24 glc
	global_load_dwordx2 v[14:15], v10, s[10:11]
	v_mov_b32_e32 v3, s13
	s_mov_b64 s[4:5], 0
	s_waitcnt vmcnt(2)
	v_add_co_u32_e32 v5, vcc, 1, v8
	v_addc_co_u32_e32 v11, vcc, 0, v9, vcc
	v_add_co_u32_e32 v2, vcc, s12, v5
	v_addc_co_u32_e32 v3, vcc, v11, v3, vcc
	v_cmp_eq_u64_e32 vcc, 0, v[2:3]
	v_cndmask_b32_e32 v3, v3, v11, vcc
	v_cndmask_b32_e32 v2, v2, v5, vcc
	v_and_b32_e32 v5, v3, v9
	v_and_b32_e32 v8, v2, v8
	v_mul_lo_u32 v5, v5, 24
	v_mul_hi_u32 v9, v8, 24
	v_mul_lo_u32 v8, v8, 24
	v_add_u32_e32 v5, v9, v5
	s_waitcnt vmcnt(0)
	v_add_co_u32_e32 v8, vcc, v14, v8
	v_addc_co_u32_e32 v9, vcc, v15, v5, vcc
	v_mov_b32_e32 v4, v12
	global_store_dwordx2 v[8:9], v[12:13], off
	v_mov_b32_e32 v5, v13
	buffer_wbl2
	s_waitcnt vmcnt(0)
	global_atomic_cmpswap_x2 v[4:5], v10, v[2:5], s[10:11] offset:24 glc
	s_waitcnt vmcnt(0)
	v_cmp_ne_u64_e32 vcc, v[4:5], v[12:13]
	s_and_b64 exec, exec, vcc
	s_cbranch_execz .LBB1_393
.LBB1_392:                              ; =>This Inner Loop Header: Depth=1
	s_sleep 1
	global_store_dwordx2 v[8:9], v[4:5], off
	buffer_wbl2
	s_waitcnt vmcnt(0)
	global_atomic_cmpswap_x2 v[12:13], v10, v[2:5], s[10:11] offset:24 glc
	s_waitcnt vmcnt(0)
	v_cmp_eq_u64_e32 vcc, v[12:13], v[4:5]
	s_or_b64 s[4:5], vcc, s[4:5]
	v_pk_mov_b32 v[4:5], v[12:13], v[12:13] op_sel:[0,1]
	s_andn2_b64 exec, exec, s[4:5]
	s_cbranch_execnz .LBB1_392
.LBB1_393:
	s_or_b64 exec, exec, s[14:15]
.LBB1_394:
	s_or_b64 exec, exec, s[6:7]
	s_mov_b64 s[4:5], 0
	s_waitcnt vmcnt(0)
	v_pk_mov_b32 v[2:3], v[6:7], v[6:7] op_sel:[0,1]
.LBB1_395:                              ; =>This Inner Loop Header: Depth=1
	flat_load_ubyte v8, v[2:3]
	v_add_co_u32_e32 v4, vcc, 1, v2
	v_addc_co_u32_e32 v5, vcc, 0, v3, vcc
	v_pk_mov_b32 v[2:3], v[4:5], v[4:5] op_sel:[0,1]
	s_waitcnt vmcnt(0) lgkmcnt(0)
	v_cmp_eq_u16_e32 vcc, 0, v8
	s_or_b64 s[4:5], vcc, s[4:5]
	s_andn2_b64 exec, exec, s[4:5]
	s_cbranch_execnz .LBB1_395
; %bb.396:
	s_or_b64 exec, exec, s[4:5]
	v_sub_u32_e32 v4, v4, v6
	v_ashrrev_i32_e32 v5, 31, v4
	v_mov_b32_e32 v2, v6
	v_mov_b32_e32 v3, v7
	;; [unrolled: 1-line block ×3, first 2 shown]
	s_getpc_b64 s[4:5]
	s_add_u32 s4, s4, __ockl_fprintf_append_string_n@rel32@lo+4
	s_addc_u32 s5, s5, __ockl_fprintf_append_string_n@rel32@hi+12
	s_swappc_b64 s[30:31], s[4:5]
	s_trap 2
.Lfunc_end1:
	.size	__assert_fail, .Lfunc_end1-__assert_fail
                                        ; -- End function
	.section	.AMDGPU.csdata,"",@progbits
; Function info:
; codeLenInByte = 15400
; NumSgprs: 38
; NumVgprs: 51
; NumAgprs: 0
; TotalNumVgprs: 51
; ScratchSize: 64
; MemoryBound: 0
	.section	.text._ZN9rocsolver6v33100L18potf2_kernel_smallIdiiPdEEvbT0_T2_lS3_lPT1_,"axG",@progbits,_ZN9rocsolver6v33100L18potf2_kernel_smallIdiiPdEEvbT0_T2_lS3_lPT1_,comdat
	.globl	_ZN9rocsolver6v33100L18potf2_kernel_smallIdiiPdEEvbT0_T2_lS3_lPT1_ ; -- Begin function _ZN9rocsolver6v33100L18potf2_kernel_smallIdiiPdEEvbT0_T2_lS3_lPT1_
	.p2align	8
	.type	_ZN9rocsolver6v33100L18potf2_kernel_smallIdiiPdEEvbT0_T2_lS3_lPT1_,@function
_ZN9rocsolver6v33100L18potf2_kernel_smallIdiiPdEEvbT0_T2_lS3_lPT1_: ; @_ZN9rocsolver6v33100L18potf2_kernel_smallIdiiPdEEvbT0_T2_lS3_lPT1_
; %bb.0:
	s_load_dwordx2 s[28:29], s[4:5], 0x3c
	s_add_u32 flat_scratch_lo, s6, s10
	s_addc_u32 flat_scratch_hi, s7, 0
	s_add_u32 s0, s0, s10
	s_mov_b64 s[26:27], s[4:5]
	s_waitcnt lgkmcnt(0)
	v_cmp_eq_u16_e64 s[4:5], s29, 1
	s_addc_u32 s1, s1, 0
	s_mov_b32 s48, s9
	v_mov_b32_e32 v41, v0
	s_and_b64 vcc, exec, s[4:5]
	s_mov_b32 s32, 0
	s_cbranch_vccnz .LBB2_2
; %bb.1:
	s_add_u32 s8, s26, 48
	s_addc_u32 s9, s27, 0
	s_getpc_b64 s[4:5]
	s_add_u32 s4, s4, .str@rel32@lo+4
	s_addc_u32 s5, s5, .str@rel32@hi+12
	s_getpc_b64 s[6:7]
	s_add_u32 s6, s6, __PRETTY_FUNCTION__._ZN9rocsolver6v33100L18potf2_kernel_smallIdiiPdEEvbT0_T2_lS3_lPT1_@rel32@lo+4
	s_addc_u32 s7, s7, __PRETTY_FUNCTION__._ZN9rocsolver6v33100L18potf2_kernel_smallIdiiPdEEvbT0_T2_lS3_lPT1_@rel32@hi+12
	v_mov_b32_e32 v0, s4
	v_mov_b32_e32 v1, s5
	v_mov_b32_e32 v2, 0x125
	v_mov_b32_e32 v3, s6
	v_mov_b32_e32 v4, s7
	s_getpc_b64 s[10:11]
	s_add_u32 s10, s10, __assert_fail@rel32@lo+4
	s_addc_u32 s11, s11, __assert_fail@rel32@hi+12
	s_swappc_b64 s[30:31], s[10:11]
	s_mov_b64 s[34:35], -1
	s_cbranch_execz .LBB2_3
	s_branch .LBB2_61
.LBB2_2:
	s_mov_b64 s[34:35], 0
.LBB2_3:
	s_load_dwordx4 s[4:7], s[26:27], 0x8
	s_waitcnt lgkmcnt(0)
	s_cmp_lg_u64 s[4:5], 0
	s_cbranch_scc0 .LBB2_21
; %bb.4:
	s_load_dwordx4 s[36:39], s[26:27], 0x20
	s_waitcnt lgkmcnt(0)
	s_cmp_lg_u64 s[38:39], 0
	s_cbranch_scc0 .LBB2_22
; %bb.5:
	s_load_dwordx2 s[40:41], s[26:27], 0x0
	s_load_dword s80, s[26:27], 0x18
	v_bfe_u32 v43, v41, 10, 10
	s_mov_b64 s[8:9], -1
	v_and_b32_e32 v42, 0x3ff, v41
	s_waitcnt lgkmcnt(0)
	s_bitcmp1_b32 s40, 0
	s_cselect_b64 s[10:11], -1, 0
	s_xor_b64 s[46:47], s[10:11], -1
	s_mul_i32 s10, s48, s37
	s_mul_hi_u32 s11, s48, s36
	s_add_i32 s11, s11, s10
	s_mul_i32 s10, s48, s36
	s_lshr_b32 s40, s28, 16
	s_and_b32 s81, s28, 0xffff
	s_lshl_b64 s[10:11], s[10:11], 3
	s_add_u32 s10, s4, s10
	s_addc_u32 s11, s5, s11
	s_lshl_b64 s[4:5], s[6:7], 3
	s_add_u32 s82, s10, s4
	s_addc_u32 s83, s11, s5
	v_cmp_gt_i32_e64 s[28:29], s41, v43
	s_mov_b64 s[36:37], 0
	s_and_b64 vcc, exec, s[46:47]
	s_barrier
	s_cbranch_vccz .LBB2_23
; %bb.6:
	s_mov_b64 s[6:7], -1
	s_and_saveexec_b64 s[42:43], s[28:29]
	s_cbranch_execz .LBB2_35
; %bb.7:
	s_lshl_b32 s4, s41, 1
	s_or_b32 s33, s4, 1
	v_lshl_add_u32 v2, v42, 3, 0
	s_lshl_b32 s49, s81, 3
	s_mov_b64 s[12:13], 0
	v_mov_b32_e32 v3, v43
                                        ; implicit-def: $sgpr10_sgpr11
                                        ; implicit-def: $sgpr8_sgpr9
                                        ; implicit-def: $sgpr6_sgpr7
                                        ; implicit-def: $sgpr14_sgpr15
	s_branch .LBB2_9
.LBB2_8:                                ;   in Loop: Header=BB2_9 Depth=1
	s_or_b64 exec, exec, s[22:23]
	s_xor_b64 s[18:19], s[20:21], -1
	s_xor_b64 s[4:5], s[4:5], -1
	s_and_b64 s[16:17], exec, s[16:17]
	s_or_b64 s[12:13], s[16:17], s[12:13]
	s_andn2_b64 s[6:7], s[6:7], exec
	s_and_b64 s[16:17], s[14:15], exec
	s_or_b64 s[6:7], s[6:7], s[16:17]
	s_andn2_b64 s[8:9], s[8:9], exec
	s_and_b64 s[16:17], s[18:19], exec
	s_andn2_b64 s[10:11], s[10:11], exec
	s_and_b64 s[4:5], s[4:5], exec
	s_or_b64 s[8:9], s[8:9], s[16:17]
	s_or_b64 s[10:11], s[10:11], s[4:5]
	s_andn2_b64 exec, exec, s[12:13]
	s_cbranch_execz .LBB2_24
.LBB2_9:                                ; =>This Loop Header: Depth=1
                                        ;     Child Loop BB2_14 Depth 2
	v_add_u32_e32 v0, v3, v42
	v_cmp_gt_i32_e32 vcc, s41, v0
	s_mov_b64 s[18:19], -1
                                        ; implicit-def: $sgpr4_sgpr5
                                        ; implicit-def: $sgpr20_sgpr21
                                        ; implicit-def: $sgpr30_sgpr31
	s_and_saveexec_b64 s[16:17], vcc
	s_cbranch_execz .LBB2_19
; %bb.10:                               ;   in Loop: Header=BB2_9 Depth=1
	v_sub_u32_e32 v1, s33, v3
	v_mul_lo_u32 v1, v1, v3
	v_mad_i64_i32 v[4:5], s[4:5], v3, s80, 0
	v_lshrrev_b32_e32 v6, 31, v1
	v_lshlrev_b64 v[4:5], 3, v[4:5]
	v_add_lshl_u32 v1, v1, v6, 2
	v_mov_b32_e32 v7, s83
	v_add_co_u32_e64 v4, s[4:5], s82, v4
	v_and_b32_e32 v1, -8, v1
	v_cmp_lt_i32_e32 vcc, -1, v3
	v_addc_co_u32_e64 v5, s[4:5], v7, v5, s[4:5]
	v_add_u32_e32 v6, v2, v1
	s_mov_b64 s[20:21], 0
                                        ; implicit-def: $sgpr18_sgpr19
                                        ; implicit-def: $sgpr30_sgpr31
                                        ; implicit-def: $sgpr24_sgpr25
                                        ; implicit-def: $sgpr22_sgpr23
                                        ; implicit-def: $sgpr44_sgpr45
                                        ; implicit-def: $sgpr50_sgpr51
                                        ; implicit-def: $sgpr52_sgpr53
                                        ; implicit-def: $sgpr54_sgpr55
                                        ; implicit-def: $sgpr56_sgpr57
	s_branch .LBB2_14
.LBB2_11:                               ;   in Loop: Header=BB2_14 Depth=2
	s_or_b64 exec, exec, s[64:65]
	s_mov_b64 s[4:5], exec
	s_orn2_b64 s[68:69], s[66:67], exec
	s_xor_b64 s[66:67], exec, -1
	s_orn2_b64 s[64:65], s[70:71], exec
.LBB2_12:                               ;   in Loop: Header=BB2_14 Depth=2
	s_or_b64 exec, exec, s[62:63]
	s_andn2_b64 s[54:55], s[54:55], exec
	s_and_b64 s[60:61], s[60:61], exec
	s_andn2_b64 s[50:51], s[50:51], exec
	s_and_b64 s[4:5], s[4:5], exec
	;; [unrolled: 2-line block ×3, first 2 shown]
	s_or_b64 s[54:55], s[54:55], s[60:61]
	s_andn2_b64 s[52:53], s[52:53], exec
	s_and_b64 s[60:61], s[66:67], exec
	s_or_b64 s[50:51], s[50:51], s[4:5]
	s_andn2_b64 s[4:5], s[44:45], exec
	s_and_b64 s[44:45], s[64:65], exec
	s_or_b64 s[56:57], s[56:57], s[62:63]
	s_or_b64 s[52:53], s[52:53], s[60:61]
	s_or_b64 s[44:45], s[4:5], s[44:45]
.LBB2_13:                               ;   in Loop: Header=BB2_14 Depth=2
	s_or_b64 exec, exec, s[58:59]
	s_xor_b64 s[4:5], s[56:57], -1
	s_and_b64 s[58:59], exec, s[44:45]
	s_or_b64 s[20:21], s[58:59], s[20:21]
	s_andn2_b64 s[22:23], s[22:23], exec
	s_and_b64 s[58:59], s[54:55], exec
	s_or_b64 s[22:23], s[22:23], s[58:59]
	s_andn2_b64 s[24:25], s[24:25], exec
	s_and_b64 s[58:59], s[52:53], exec
	;; [unrolled: 3-line block ×3, first 2 shown]
	s_andn2_b64 s[18:19], s[18:19], exec
	s_and_b64 s[4:5], s[4:5], exec
	s_or_b64 s[30:31], s[30:31], s[58:59]
	s_or_b64 s[18:19], s[18:19], s[4:5]
	s_andn2_b64 exec, exec, s[20:21]
	s_cbranch_execz .LBB2_18
.LBB2_14:                               ;   Parent Loop BB2_9 Depth=1
                                        ; =>  This Inner Loop Header: Depth=2
	v_cmp_lt_i32_e64 s[4:5], -1, v0
	s_or_b64 s[56:57], s[56:57], exec
	s_or_b64 s[54:55], s[54:55], exec
	s_andn2_b64 s[52:53], s[52:53], exec
	s_andn2_b64 s[50:51], s[50:51], exec
	s_or_b64 s[44:45], s[44:45], exec
	s_and_saveexec_b64 s[58:59], s[4:5]
	s_cbranch_execz .LBB2_13
; %bb.15:                               ;   in Loop: Header=BB2_14 Depth=2
	s_mov_b64 s[60:61], 0
	s_mov_b64 s[64:65], -1
	s_mov_b64 s[4:5], 0
	s_mov_b64 s[66:67], -1
	s_mov_b64 s[68:69], -1
	s_and_saveexec_b64 s[62:63], vcc
	s_cbranch_execz .LBB2_12
; %bb.16:                               ;   in Loop: Header=BB2_14 Depth=2
	v_cmp_ge_u32_e64 s[4:5], v0, v3
	s_mov_b64 s[70:71], -1
	s_and_saveexec_b64 s[64:65], s[4:5]
	s_cbranch_execz .LBB2_11
; %bb.17:                               ;   in Loop: Header=BB2_14 Depth=2
	v_ashrrev_i32_e32 v1, 31, v0
	v_lshlrev_b64 v[8:9], 3, v[0:1]
	v_add_co_u32_e64 v8, s[4:5], v4, v8
	v_addc_co_u32_e64 v9, s[4:5], v5, v9, s[4:5]
	global_load_dwordx2 v[8:9], v[8:9], off
	v_add_u32_e32 v0, s81, v0
	v_cmp_le_i32_e64 s[4:5], s41, v0
	s_xor_b64 s[66:67], exec, -1
	s_orn2_b64 s[70:71], s[4:5], exec
	s_waitcnt vmcnt(0)
	ds_write_b64 v6, v[8:9]
	v_add_u32_e32 v6, s49, v6
	s_branch .LBB2_11
.LBB2_18:                               ;   in Loop: Header=BB2_9 Depth=1
	s_or_b64 exec, exec, s[20:21]
	s_and_b64 s[30:31], s[30:31], exec
	s_and_b64 s[20:21], s[24:25], exec
	;; [unrolled: 1-line block ×3, first 2 shown]
	s_orn2_b64 s[18:19], s[18:19], exec
.LBB2_19:                               ;   in Loop: Header=BB2_9 Depth=1
	s_or_b64 exec, exec, s[16:17]
	s_andn2_b64 s[14:15], s[14:15], exec
	s_and_b64 s[22:23], s[30:31], exec
	s_mov_b64 s[16:17], -1
	s_or_b64 s[14:15], s[14:15], s[22:23]
	s_and_saveexec_b64 s[22:23], s[18:19]
	s_cbranch_execz .LBB2_8
; %bb.20:                               ;   in Loop: Header=BB2_9 Depth=1
	v_add_u32_e32 v3, s40, v3
	v_cmp_le_i32_e32 vcc, s41, v3
	s_andn2_b64 s[14:15], s[14:15], exec
	s_andn2_b64 s[20:21], s[20:21], exec
	;; [unrolled: 1-line block ×3, first 2 shown]
	s_orn2_b64 s[16:17], vcc, exec
	s_branch .LBB2_8
.LBB2_21:
	s_cbranch_execnz .LBB2_60
	s_branch .LBB2_61
.LBB2_22:
	s_cbranch_execnz .LBB2_58
	s_branch .LBB2_59
.LBB2_23:
	s_mov_b64 s[6:7], 0
	s_and_b64 vcc, exec, s[8:9]
	s_mov_b64 s[42:43], 0
	s_cbranch_vccnz .LBB2_36
	s_branch .LBB2_53
.LBB2_24:
	s_or_b64 exec, exec, s[12:13]
	s_mov_b64 s[50:51], 0
	s_mov_b64 s[54:55], s[34:35]
	s_and_saveexec_b64 s[4:5], s[10:11]
	s_xor_b64 s[44:45], exec, s[4:5]
	s_cbranch_execz .LBB2_32
; %bb.25:
	s_mov_b64 s[52:53], 0
	s_mov_b64 s[54:55], s[34:35]
	s_and_saveexec_b64 s[4:5], s[8:9]
	s_xor_b64 s[50:51], exec, s[4:5]
	s_cbranch_execz .LBB2_29
; %bb.26:
	s_mov_b64 s[4:5], -1
	s_mov_b64 s[8:9], s[34:35]
	s_and_saveexec_b64 s[10:11], s[6:7]
	s_xor_b64 s[52:53], exec, s[10:11]
	s_cbranch_execz .LBB2_28
; %bb.27:
	s_add_u32 s8, s26, 48
	s_addc_u32 s9, s27, 0
	s_getpc_b64 s[4:5]
	s_add_u32 s4, s4, .str.8@rel32@lo+4
	s_addc_u32 s5, s5, .str.8@rel32@hi+12
	s_getpc_b64 s[6:7]
	s_add_u32 s6, s6, __PRETTY_FUNCTION__._ZN9rocsolver6v33100L9idx_lowerIiEET_S2_S2_S2_@rel32@lo+4
	s_addc_u32 s7, s7, __PRETTY_FUNCTION__._ZN9rocsolver6v33100L9idx_lowerIiEET_S2_S2_S2_@rel32@hi+12
	v_mov_b32_e32 v0, s4
	v_mov_b32_e32 v1, s5
	;; [unrolled: 1-line block ×5, first 2 shown]
	s_getpc_b64 s[10:11]
	s_add_u32 s10, s10, __assert_fail@rel32@lo+4
	s_addc_u32 s11, s11, __assert_fail@rel32@hi+12
	s_swappc_b64 s[30:31], s[10:11]
	s_or_b64 s[8:9], s[34:35], exec
	s_xor_b64 s[4:5], exec, -1
.LBB2_28:
	s_or_b64 exec, exec, s[52:53]
	s_andn2_b64 s[6:7], s[34:35], exec
	s_and_b64 s[8:9], s[8:9], exec
	s_or_b64 s[54:55], s[6:7], s[8:9]
	s_and_b64 s[52:53], s[4:5], exec
.LBB2_29:
	s_andn2_saveexec_b64 s[50:51], s[50:51]
	s_cbranch_execz .LBB2_31
; %bb.30:
	s_add_u32 s8, s26, 48
	s_addc_u32 s9, s27, 0
	s_getpc_b64 s[4:5]
	s_add_u32 s4, s4, .str.7@rel32@lo+4
	s_addc_u32 s5, s5, .str.7@rel32@hi+12
	s_getpc_b64 s[6:7]
	s_add_u32 s6, s6, __PRETTY_FUNCTION__._ZN9rocsolver6v33100L9idx_lowerIiEET_S2_S2_S2_@rel32@lo+4
	s_addc_u32 s7, s7, __PRETTY_FUNCTION__._ZN9rocsolver6v33100L9idx_lowerIiEET_S2_S2_S2_@rel32@hi+12
	v_mov_b32_e32 v0, s4
	v_mov_b32_e32 v1, s5
	;; [unrolled: 1-line block ×5, first 2 shown]
	s_getpc_b64 s[10:11]
	s_add_u32 s10, s10, __assert_fail@rel32@lo+4
	s_addc_u32 s11, s11, __assert_fail@rel32@hi+12
	s_swappc_b64 s[30:31], s[10:11]
	s_or_b64 s[54:55], s[54:55], exec
.LBB2_31:
	s_or_b64 exec, exec, s[50:51]
	s_andn2_b64 s[4:5], s[34:35], exec
	s_and_b64 s[6:7], s[54:55], exec
	s_or_b64 s[54:55], s[4:5], s[6:7]
	s_and_b64 s[50:51], s[52:53], exec
.LBB2_32:
	s_andn2_saveexec_b64 s[44:45], s[44:45]
	s_cbranch_execz .LBB2_34
; %bb.33:
	s_add_u32 s8, s26, 48
	s_addc_u32 s9, s27, 0
	s_getpc_b64 s[4:5]
	s_add_u32 s4, s4, .str.6@rel32@lo+4
	s_addc_u32 s5, s5, .str.6@rel32@hi+12
	s_getpc_b64 s[6:7]
	s_add_u32 s6, s6, __PRETTY_FUNCTION__._ZN9rocsolver6v33100L9idx_lowerIiEET_S2_S2_S2_@rel32@lo+4
	s_addc_u32 s7, s7, __PRETTY_FUNCTION__._ZN9rocsolver6v33100L9idx_lowerIiEET_S2_S2_S2_@rel32@hi+12
	v_mov_b32_e32 v0, s4
	v_mov_b32_e32 v1, s5
	;; [unrolled: 1-line block ×5, first 2 shown]
	s_getpc_b64 s[10:11]
	s_add_u32 s10, s10, __assert_fail@rel32@lo+4
	s_addc_u32 s11, s11, __assert_fail@rel32@hi+12
	s_swappc_b64 s[30:31], s[10:11]
	s_or_b64 s[54:55], s[54:55], exec
.LBB2_34:
	s_or_b64 exec, exec, s[44:45]
	s_andn2_b64 s[4:5], s[34:35], exec
	s_and_b64 s[6:7], s[54:55], exec
	s_or_b64 s[34:35], s[4:5], s[6:7]
	s_orn2_b64 s[6:7], s[50:51], exec
.LBB2_35:
	s_or_b64 exec, exec, s[42:43]
	s_mov_b64 s[42:43], 0
	s_branch .LBB2_53
.LBB2_36:
	s_mov_b64 s[6:7], -1
	s_mov_b64 s[36:37], 0
	s_and_saveexec_b64 s[4:5], s[28:29]
	s_cbranch_execz .LBB2_52
; %bb.37:
	s_lshl_b32 s6, s41, 1
	v_sub_u32_e32 v0, s6, v42
	v_add_u32_e32 v2, 1, v0
	v_lshlrev_b32_e32 v0, 3, v43
	v_lshlrev_b32_e32 v1, 3, v42
	v_sub_u32_e32 v0, v0, v1
	s_lshl_b32 s6, s81, 3
	v_add_u32_e32 v3, 0, v0
	s_lshl_b32 s33, s40, 3
	s_sub_i32 s49, 0, s6
	s_mov_b64 s[10:11], 0
	v_mov_b32_e32 v4, v43
                                        ; implicit-def: $sgpr8_sgpr9
                                        ; implicit-def: $sgpr6_sgpr7
	s_branch .LBB2_39
.LBB2_38:                               ;   in Loop: Header=BB2_39 Depth=1
	s_or_b64 exec, exec, s[18:19]
	s_xor_b64 s[14:15], s[20:21], -1
	s_xor_b64 s[16:17], s[16:17], -1
	s_and_b64 s[12:13], exec, s[12:13]
	s_or_b64 s[10:11], s[12:13], s[10:11]
	s_andn2_b64 s[6:7], s[6:7], exec
	s_and_b64 s[12:13], s[14:15], exec
	s_or_b64 s[6:7], s[6:7], s[12:13]
	s_andn2_b64 s[8:9], s[8:9], exec
	s_and_b64 s[12:13], s[16:17], exec
	s_or_b64 s[8:9], s[8:9], s[12:13]
	s_andn2_b64 exec, exec, s[10:11]
	s_cbranch_execz .LBB2_49
.LBB2_39:                               ; =>This Loop Header: Depth=1
                                        ;     Child Loop BB2_43 Depth 2
	v_cmp_le_i32_e32 vcc, v42, v4
	s_mov_b64 s[14:15], -1
                                        ; implicit-def: $sgpr16_sgpr17
                                        ; implicit-def: $sgpr20_sgpr21
	s_and_saveexec_b64 s[12:13], vcc
	s_cbranch_execz .LBB2_47
; %bb.40:                               ;   in Loop: Header=BB2_39 Depth=1
	v_mad_i64_i32 v[0:1], s[14:15], v4, s80, 0
	v_lshlrev_b64 v[0:1], 3, v[0:1]
	v_mov_b32_e32 v6, s83
	v_add_co_u32_e32 v5, vcc, s82, v0
	v_addc_co_u32_e32 v6, vcc, v6, v1, vcc
	s_mov_b64 s[16:17], 0
	v_mov_b32_e32 v7, v3
	v_mov_b32_e32 v8, v2
	;; [unrolled: 1-line block ×3, first 2 shown]
                                        ; implicit-def: $sgpr14_sgpr15
                                        ; implicit-def: $sgpr20_sgpr21
                                        ; implicit-def: $sgpr18_sgpr19
                                        ; implicit-def: $sgpr30_sgpr31
                                        ; implicit-def: $sgpr22_sgpr23
                                        ; implicit-def: $sgpr24_sgpr25
                                        ; implicit-def: $sgpr36_sgpr37
	s_branch .LBB2_43
.LBB2_41:                               ;   in Loop: Header=BB2_43 Depth=2
	s_or_b64 exec, exec, s[44:45]
	s_andn2_b64 s[36:37], s[36:37], exec
	s_and_b64 s[44:45], s[50:51], exec
	s_or_b64 s[36:37], s[36:37], s[44:45]
	s_andn2_b64 s[30:31], s[30:31], exec
	s_and_b64 s[44:45], s[52:53], exec
	s_andn2_b64 s[24:25], s[24:25], exec
	s_or_b64 s[22:23], s[22:23], exec
	s_or_b64 s[30:31], s[30:31], s[44:45]
.LBB2_42:                               ;   in Loop: Header=BB2_43 Depth=2
	s_or_b64 exec, exec, s[42:43]
	s_xor_b64 s[42:43], s[36:37], -1
	s_and_b64 s[44:45], exec, s[30:31]
	s_or_b64 s[16:17], s[44:45], s[16:17]
	s_andn2_b64 s[18:19], s[18:19], exec
	s_and_b64 s[44:45], s[24:25], exec
	s_or_b64 s[18:19], s[18:19], s[44:45]
	s_andn2_b64 s[20:21], s[20:21], exec
	s_and_b64 s[44:45], s[22:23], exec
	s_andn2_b64 s[14:15], s[14:15], exec
	s_and_b64 s[42:43], s[42:43], exec
	s_or_b64 s[20:21], s[20:21], s[44:45]
	s_or_b64 s[14:15], s[14:15], s[42:43]
	s_andn2_b64 exec, exec, s[16:17]
	s_cbranch_execz .LBB2_46
.LBB2_43:                               ;   Parent Loop BB2_39 Depth=1
                                        ; =>  This Inner Loop Header: Depth=2
	v_cmp_lt_i32_e32 vcc, -1, v0
	s_or_b64 s[36:37], s[36:37], exec
	s_or_b64 s[24:25], s[24:25], exec
	s_andn2_b64 s[22:23], s[22:23], exec
	s_or_b64 s[30:31], s[30:31], exec
	s_and_saveexec_b64 s[42:43], vcc
	s_cbranch_execz .LBB2_42
; %bb.44:                               ;   in Loop: Header=BB2_43 Depth=2
	v_cmp_ge_u32_e32 vcc, v4, v0
	s_mov_b64 s[52:53], -1
	s_mov_b64 s[50:51], -1
	s_and_saveexec_b64 s[44:45], vcc
	s_cbranch_execz .LBB2_41
; %bb.45:                               ;   in Loop: Header=BB2_43 Depth=2
	v_ashrrev_i32_e32 v1, 31, v0
	v_lshlrev_b64 v[10:11], 3, v[0:1]
	v_add_co_u32_e32 v10, vcc, v5, v10
	v_addc_co_u32_e32 v11, vcc, v6, v11, vcc
	global_load_dwordx2 v[10:11], v[10:11], off
	v_mul_lo_u32 v1, v8, v0
	v_lshrrev_b32_e32 v9, 31, v1
	v_add_u32_e32 v0, s81, v0
	v_add_lshl_u32 v1, v1, v9, 2
	v_cmp_gt_i32_e32 vcc, v0, v4
	v_and_b32_e32 v1, -8, v1
	v_subrev_u32_e32 v8, s81, v8
	s_xor_b64 s[50:51], exec, -1
	v_add_u32_e32 v1, v7, v1
	v_add_u32_e32 v7, s49, v7
	s_orn2_b64 s[52:53], vcc, exec
	s_waitcnt vmcnt(0)
	ds_write_b64 v1, v[10:11]
	s_branch .LBB2_41
.LBB2_46:                               ;   in Loop: Header=BB2_39 Depth=1
	s_or_b64 exec, exec, s[16:17]
	s_and_b64 s[20:21], s[20:21], exec
	s_and_b64 s[16:17], s[18:19], exec
	s_orn2_b64 s[14:15], s[14:15], exec
.LBB2_47:                               ;   in Loop: Header=BB2_39 Depth=1
	s_or_b64 exec, exec, s[12:13]
	s_mov_b64 s[12:13], -1
	s_and_saveexec_b64 s[18:19], s[14:15]
	s_cbranch_execz .LBB2_38
; %bb.48:                               ;   in Loop: Header=BB2_39 Depth=1
	v_add_u32_e32 v4, s40, v4
	v_cmp_le_i32_e32 vcc, s41, v4
	v_add_u32_e32 v3, s33, v3
	s_andn2_b64 s[20:21], s[20:21], exec
	s_andn2_b64 s[16:17], s[16:17], exec
	s_orn2_b64 s[12:13], vcc, exec
	s_branch .LBB2_38
.LBB2_49:
	s_or_b64 exec, exec, s[10:11]
	s_mov_b64 s[10:11], 0
	s_mov_b64 s[14:15], -1
	s_mov_b64 s[12:13], 0
	s_and_saveexec_b64 s[16:17], s[8:9]
	s_xor_b64 s[8:9], exec, s[16:17]
; %bb.50:
	s_mov_b64 s[12:13], exec
	s_xor_b64 s[14:15], exec, -1
	s_and_b64 s[10:11], s[6:7], exec
; %bb.51:
	s_or_b64 exec, exec, s[8:9]
	s_and_b64 s[42:43], s[14:15], exec
	s_and_b64 s[36:37], s[12:13], exec
	s_orn2_b64 s[6:7], s[10:11], exec
.LBB2_52:
	s_or_b64 exec, exec, s[4:5]
.LBB2_53:
	s_and_saveexec_b64 s[44:45], s[6:7]
	s_cbranch_execnz .LBB2_64
; %bb.54:
	s_or_b64 exec, exec, s[44:45]
	s_and_saveexec_b64 s[4:5], s[36:37]
	s_xor_b64 s[28:29], exec, s[4:5]
	s_cbranch_execnz .LBB2_119
.LBB2_55:
	s_or_b64 exec, exec, s[28:29]
	s_and_saveexec_b64 s[4:5], s[42:43]
	s_xor_b64 s[28:29], exec, s[4:5]
	s_cbranch_execz .LBB2_57
.LBB2_56:
	s_add_u32 s8, s26, 48
	s_addc_u32 s9, s27, 0
	s_getpc_b64 s[4:5]
	s_add_u32 s4, s4, .str.7@rel32@lo+4
	s_addc_u32 s5, s5, .str.7@rel32@hi+12
	s_getpc_b64 s[6:7]
	s_add_u32 s6, s6, __PRETTY_FUNCTION__._ZN9rocsolver6v33100L9idx_lowerIiEET_S2_S2_S2_@rel32@lo+4
	s_addc_u32 s7, s7, __PRETTY_FUNCTION__._ZN9rocsolver6v33100L9idx_lowerIiEET_S2_S2_S2_@rel32@hi+12
	s_waitcnt lgkmcnt(0)
	v_mov_b32_e32 v0, s4
	v_mov_b32_e32 v1, s5
	;; [unrolled: 1-line block ×5, first 2 shown]
	s_getpc_b64 s[10:11]
	s_add_u32 s10, s10, __assert_fail@rel32@lo+4
	s_addc_u32 s11, s11, __assert_fail@rel32@hi+12
	s_swappc_b64 s[30:31], s[10:11]
	s_or_b64 s[34:35], s[34:35], exec
.LBB2_57:
	s_or_b64 exec, exec, s[28:29]
	s_branch .LBB2_59
.LBB2_58:
	s_add_u32 s8, s26, 48
	s_addc_u32 s9, s27, 0
	s_getpc_b64 s[4:5]
	s_add_u32 s4, s4, .str.3@rel32@lo+4
	s_addc_u32 s5, s5, .str.3@rel32@hi+12
	s_getpc_b64 s[6:7]
	s_add_u32 s6, s6, __PRETTY_FUNCTION__._ZN9rocsolver6v33100L18potf2_kernel_smallIdiiPdEEvbT0_T2_lS3_lPT1_@rel32@lo+4
	s_addc_u32 s7, s7, __PRETTY_FUNCTION__._ZN9rocsolver6v33100L18potf2_kernel_smallIdiiPdEEvbT0_T2_lS3_lPT1_@rel32@hi+12
	s_waitcnt lgkmcnt(0)
	v_mov_b32_e32 v0, s4
	v_mov_b32_e32 v1, s5
	;; [unrolled: 1-line block ×5, first 2 shown]
	s_getpc_b64 s[10:11]
	s_add_u32 s10, s10, __assert_fail@rel32@lo+4
	s_addc_u32 s11, s11, __assert_fail@rel32@hi+12
	s_swappc_b64 s[30:31], s[10:11]
	s_or_b64 s[34:35], s[34:35], exec
.LBB2_59:
	s_branch .LBB2_61
.LBB2_60:
	s_add_u32 s8, s26, 48
	s_addc_u32 s9, s27, 0
	s_getpc_b64 s[4:5]
	s_add_u32 s4, s4, .str.2@rel32@lo+4
	s_addc_u32 s5, s5, .str.2@rel32@hi+12
	s_getpc_b64 s[6:7]
	s_add_u32 s6, s6, __PRETTY_FUNCTION__._ZN9rocsolver6v33100L18potf2_kernel_smallIdiiPdEEvbT0_T2_lS3_lPT1_@rel32@lo+4
	s_addc_u32 s7, s7, __PRETTY_FUNCTION__._ZN9rocsolver6v33100L18potf2_kernel_smallIdiiPdEEvbT0_T2_lS3_lPT1_@rel32@hi+12
	s_waitcnt lgkmcnt(0)
	v_mov_b32_e32 v0, s4
	v_mov_b32_e32 v1, s5
	;; [unrolled: 1-line block ×5, first 2 shown]
	s_getpc_b64 s[10:11]
	s_add_u32 s10, s10, __assert_fail@rel32@lo+4
	s_addc_u32 s11, s11, __assert_fail@rel32@hi+12
	s_swappc_b64 s[30:31], s[10:11]
	s_or_b64 s[34:35], s[34:35], exec
.LBB2_61:
	s_and_saveexec_b64 s[4:5], s[34:35]
; %bb.62:
	; divergent unreachable
; %bb.63:
	s_endpgm
.LBB2_64:
	s_cmp_gt_i32 s41, 0
	s_mov_b32 s33, 0
	s_waitcnt lgkmcnt(0)
	s_barrier
	s_cbranch_scc0 .LBB2_106
; %bb.65:
	s_mov_b32 s49, 0
	s_mul_i32 s70, s40, s81
	v_bfe_u32 v1, v41, 20, 10
	s_lshl_b64 s[4:5], s[48:49], 2
	v_mul_u32_u24_e32 v0, s81, v43
	v_mul_lo_u32 v1, s70, v1
	s_add_u32 s12, s38, s4
	v_add3_u32 v2, v0, v42, v1
	s_addc_u32 s13, s39, s5
	s_lshl_b32 s4, s41, 1
	v_lshlrev_b32_e32 v0, 3, v43
	s_mov_b32 s20, 0
	s_or_b32 s71, s4, 1
	v_cmp_eq_u32_e64 s[4:5], 0, v2
	s_lshl_b32 s72, s70, 3
	v_sub_u32_e32 v3, 0, v0
	s_lshl_b32 s73, s40, 3
	v_lshl_add_u32 v4, v42, 3, 0
	s_lshl_b32 s74, s81, 3
	s_mov_b64 s[16:17], 0
	v_mov_b32_e32 v5, 0x180
	v_mov_b32_e32 v6, 0
	s_brev_b32 s21, 8
	v_mov_b32_e32 v7, 0x260
                                        ; implicit-def: $sgpr18_sgpr19
                                        ; implicit-def: $sgpr14_sgpr15
                                        ; implicit-def: $sgpr10_sgpr11
	s_branch .LBB2_67
.LBB2_66:                               ;   in Loop: Header=BB2_67 Depth=1
	s_or_b64 exec, exec, s[48:49]
	s_xor_b64 s[6:7], s[38:39], -1
	s_xor_b64 s[22:23], s[30:31], -1
	s_xor_b64 s[24:25], s[24:25], -1
	s_and_b64 s[8:9], exec, s[8:9]
	s_or_b64 s[16:17], s[8:9], s[16:17]
	s_andn2_b64 s[8:9], s[10:11], exec
	s_and_b64 s[6:7], s[6:7], exec
	s_or_b64 s[10:11], s[8:9], s[6:7]
	s_andn2_b64 s[6:7], s[14:15], exec
	s_and_b64 s[8:9], s[22:23], exec
	;; [unrolled: 3-line block ×3, first 2 shown]
	s_or_b64 s[18:19], s[6:7], s[8:9]
	s_andn2_b64 exec, exec, s[16:17]
	s_cbranch_execz .LBB2_101
.LBB2_67:                               ; =>This Loop Header: Depth=1
                                        ;     Child Loop BB2_79 Depth 2
                                        ;     Child Loop BB2_89 Depth 2
                                        ;       Child Loop BB2_93 Depth 3
	s_sub_i32 s6, s71, s33
	s_mul_i32 s6, s6, s33
	s_lshr_b32 s7, s6, 31
	s_add_i32 s6, s6, s7
	s_ashr_i32 s50, s6, 1
	s_lshl_b32 s75, s50, 3
	s_add_i32 s76, s75, 0
	s_waitcnt lgkmcnt(0)
	v_mov_b32_e32 v0, s76
	ds_read_b64 v[0:1], v0
	s_mov_b64 s[22:23], 0
	s_mov_b64 s[8:9], -1
	s_waitcnt lgkmcnt(0)
	v_cmp_class_f64_e64 s[6:7], v[0:1], v5
	s_and_b64 vcc, exec, s[6:7]
	s_cbranch_vccnz .LBB2_72
; %bb.68:                               ;   in Loop: Header=BB2_67 Depth=1
	s_and_saveexec_b64 s[8:9], s[4:5]
	s_cbranch_execz .LBB2_71
; %bb.69:                               ;   in Loop: Header=BB2_67 Depth=1
	global_load_dword v8, v6, s[12:13]
	s_waitcnt vmcnt(0)
	v_cmp_ne_u32_e32 vcc, 0, v8
	s_cbranch_vccnz .LBB2_71
; %bb.70:                               ;   in Loop: Header=BB2_67 Depth=1
	s_add_i32 s22, s33, 1
	v_mov_b32_e32 v8, s22
	global_store_dword v6, v8, s[12:13]
.LBB2_71:                               ;   in Loop: Header=BB2_67 Depth=1
	s_or_b64 exec, exec, s[8:9]
	s_mov_b64 s[8:9], 0
	s_mov_b64 s[22:23], -1
.LBB2_72:                               ;   in Loop: Header=BB2_67 Depth=1
	s_andn2_b64 vcc, exec, s[8:9]
	s_cbranch_vccnz .LBB2_82
; %bb.73:                               ;   in Loop: Header=BB2_67 Depth=1
	v_cmp_gt_f64_e32 vcc, s[20:21], v[0:1]
	v_cndmask_b32_e64 v8, 0, 1, vcc
	v_lshlrev_b32_e32 v8, 8, v8
	v_ldexp_f64 v[0:1], v[0:1], v8
	v_rsq_f64_e32 v[8:9], v[0:1]
	s_and_b64 s[8:9], vcc, exec
	s_cselect_b32 s8, 0xffffff80, 0
	v_cmp_class_f64_e32 vcc, v[0:1], v7
	v_mul_f64 v[10:11], v[0:1], v[8:9]
	v_mul_f64 v[8:9], v[8:9], 0.5
	v_fma_f64 v[12:13], -v[8:9], v[10:11], 0.5
	v_fmac_f64_e32 v[10:11], v[10:11], v[12:13]
	v_fmac_f64_e32 v[8:9], v[8:9], v[12:13]
	v_fma_f64 v[12:13], -v[10:11], v[10:11], v[0:1]
	v_fmac_f64_e32 v[10:11], v[12:13], v[8:9]
	v_fma_f64 v[12:13], -v[10:11], v[10:11], v[0:1]
	v_fmac_f64_e32 v[10:11], v[12:13], v[8:9]
	v_ldexp_f64 v[8:9], v[10:11], s8
	v_cndmask_b32_e32 v1, v9, v1, vcc
	v_cndmask_b32_e32 v0, v8, v0, vcc
	s_and_saveexec_b64 s[8:9], s[4:5]
	s_cbranch_execz .LBB2_75
; %bb.74:                               ;   in Loop: Header=BB2_67 Depth=1
	v_mov_b32_e32 v8, s76
	ds_write_b64 v8, v[0:1]
.LBB2_75:                               ;   in Loop: Header=BB2_67 Depth=1
	s_or_b64 exec, exec, s[8:9]
	s_add_i32 s77, s33, 1
	v_add_u32_e32 v8, s77, v2
	v_cmp_gt_i32_e32 vcc, s41, v8
	s_mov_b64 s[8:9], -1
	s_waitcnt lgkmcnt(0)
	s_barrier
	s_waitcnt lgkmcnt(0)
                                        ; implicit-def: $sgpr24_sgpr25
                                        ; implicit-def: $sgpr30_sgpr31
                                        ; implicit-def: $sgpr38_sgpr39
	s_and_saveexec_b64 s[48:49], vcc
	s_cbranch_execz .LBB2_84
; %bb.76:                               ;   in Loop: Header=BB2_67 Depth=1
	v_add_lshl_u32 v9, v2, s50, 3
	v_add3_u32 v9, 0, 8, v9
	s_mov_b64 s[30:31], 0
	s_mov_b64 s[60:61], 0
                                        ; implicit-def: $sgpr50_sgpr51
                                        ; implicit-def: $sgpr38_sgpr39
                                        ; implicit-def: $sgpr52_sgpr53
                                        ; implicit-def: $sgpr24_sgpr25
                                        ; implicit-def: $sgpr58_sgpr59
                                        ; implicit-def: $sgpr54_sgpr55
                                        ; implicit-def: $sgpr56_sgpr57
                                        ; implicit-def: $sgpr62_sgpr63
	s_branch .LBB2_79
.LBB2_77:                               ;   in Loop: Header=BB2_79 Depth=2
	s_or_b64 exec, exec, s[66:67]
	s_andn2_b64 s[62:63], s[62:63], exec
	s_and_b64 s[66:67], s[68:69], exec
	s_andn2_b64 s[58:59], s[58:59], exec
	s_and_b64 s[8:9], s[8:9], exec
	s_or_b64 s[62:63], s[62:63], s[66:67]
	s_andn2_b64 s[56:57], s[56:57], exec
	s_or_b64 s[54:55], s[54:55], exec
	s_or_b64 s[58:59], s[58:59], s[8:9]
.LBB2_78:                               ;   in Loop: Header=BB2_79 Depth=2
	s_or_b64 exec, exec, s[64:65]
	s_xor_b64 s[8:9], s[62:63], -1
	s_and_b64 s[64:65], exec, s[58:59]
	s_or_b64 s[60:61], s[64:65], s[60:61]
	s_andn2_b64 s[24:25], s[24:25], exec
	s_and_b64 s[64:65], s[56:57], exec
	s_or_b64 s[24:25], s[24:25], s[64:65]
	s_andn2_b64 s[52:53], s[52:53], exec
	s_and_b64 s[64:65], s[54:55], exec
	;; [unrolled: 3-line block ×3, first 2 shown]
	s_andn2_b64 s[50:51], s[50:51], exec
	s_and_b64 s[8:9], s[8:9], exec
	s_or_b64 s[38:39], s[38:39], s[64:65]
	s_or_b64 s[50:51], s[50:51], s[8:9]
	s_andn2_b64 exec, exec, s[60:61]
	s_cbranch_execz .LBB2_83
.LBB2_79:                               ;   Parent Loop BB2_67 Depth=1
                                        ; =>  This Inner Loop Header: Depth=2
	v_cmp_lt_i32_e32 vcc, -1, v8
	s_or_b64 s[62:63], s[62:63], exec
	s_or_b64 s[56:57], s[56:57], exec
	s_andn2_b64 s[54:55], s[54:55], exec
	s_or_b64 s[58:59], s[58:59], exec
	s_and_saveexec_b64 s[64:65], vcc
	s_cbranch_execz .LBB2_78
; %bb.80:                               ;   in Loop: Header=BB2_79 Depth=2
	v_cmp_le_u32_e32 vcc, s33, v8
	s_mov_b64 s[8:9], -1
	s_mov_b64 s[68:69], -1
	s_and_saveexec_b64 s[66:67], vcc
	s_cbranch_execz .LBB2_77
; %bb.81:                               ;   in Loop: Header=BB2_79 Depth=2
	ds_read_b64 v[10:11], v9
	v_add_u32_e32 v8, s70, v8
	s_xor_b64 s[68:69], exec, -1
	s_waitcnt lgkmcnt(0)
	v_div_scale_f64 v[12:13], s[8:9], v[0:1], v[0:1], v[10:11]
	v_rcp_f64_e32 v[14:15], v[12:13]
	v_div_scale_f64 v[16:17], vcc, v[10:11], v[0:1], v[10:11]
	v_cmp_le_i32_e64 s[8:9], s41, v8
	v_fma_f64 v[18:19], -v[12:13], v[14:15], 1.0
	v_fmac_f64_e32 v[14:15], v[14:15], v[18:19]
	v_fma_f64 v[18:19], -v[12:13], v[14:15], 1.0
	v_fmac_f64_e32 v[14:15], v[14:15], v[18:19]
	v_mul_f64 v[18:19], v[16:17], v[14:15]
	v_fma_f64 v[12:13], -v[12:13], v[18:19], v[16:17]
	v_div_fmas_f64 v[12:13], v[12:13], v[14:15], v[18:19]
	v_div_fixup_f64 v[10:11], v[12:13], v[0:1], v[10:11]
	ds_write_b64 v9, v[10:11]
	v_add_u32_e32 v9, s72, v9
	s_orn2_b64 s[8:9], s[8:9], exec
	s_branch .LBB2_77
.LBB2_82:                               ;   in Loop: Header=BB2_67 Depth=1
                                        ; implicit-def: $sgpr24_sgpr25
                                        ; implicit-def: $sgpr30_sgpr31
                                        ; implicit-def: $sgpr38_sgpr39
	s_mov_b64 s[8:9], -1
	s_and_saveexec_b64 s[48:49], s[22:23]
	s_cbranch_execz .LBB2_66
	s_branch .LBB2_100
.LBB2_83:                               ;   in Loop: Header=BB2_67 Depth=1
	s_or_b64 exec, exec, s[60:61]
	s_and_b64 s[38:39], s[38:39], exec
	s_and_b64 s[30:31], s[52:53], exec
	;; [unrolled: 1-line block ×3, first 2 shown]
	s_orn2_b64 s[8:9], s[50:51], exec
.LBB2_84:                               ;   in Loop: Header=BB2_67 Depth=1
	s_or_b64 exec, exec, s[48:49]
	s_and_saveexec_b64 s[48:49], s[8:9]
	s_xor_b64 s[48:49], exec, s[48:49]
	s_cbranch_execz .LBB2_99
; %bb.85:                               ;   in Loop: Header=BB2_67 Depth=1
	v_add_u32_e32 v8, s77, v43
	v_cmp_gt_i32_e32 vcc, s41, v8
	s_mov_b64 s[54:55], -1
	s_waitcnt lgkmcnt(0)
	s_barrier
	s_waitcnt lgkmcnt(0)
                                        ; implicit-def: $sgpr52_sgpr53
                                        ; implicit-def: $sgpr8_sgpr9
	s_and_saveexec_b64 s[50:51], vcc
	s_cbranch_execz .LBB2_96
; %bb.86:                               ;   in Loop: Header=BB2_67 Depth=1
	v_add_u32_e32 v9, s77, v42
	v_cmp_gt_i32_e32 vcc, s41, v9
	s_mov_b64 s[52:53], 0
	v_mov_b32_e32 v10, v3
                                        ; implicit-def: $sgpr54_sgpr55
                                        ; implicit-def: $sgpr58_sgpr59
                                        ; implicit-def: $sgpr56_sgpr57
	s_branch .LBB2_89
.LBB2_87:                               ;   in Loop: Header=BB2_89 Depth=2
	s_or_b64 exec, exec, s[62:63]
	v_add_u32_e32 v8, s40, v8
	v_cmp_le_i32_e64 s[8:9], s41, v8
	s_andn2_b64 s[58:59], s[58:59], exec
	s_and_b64 s[8:9], s[8:9], exec
	v_subrev_u32_e32 v10, s73, v10
	s_andn2_b64 s[56:57], s[56:57], exec
	s_or_b64 s[58:59], s[58:59], s[8:9]
.LBB2_88:                               ;   in Loop: Header=BB2_89 Depth=2
	s_or_b64 exec, exec, s[60:61]
	s_xor_b64 s[8:9], s[56:57], -1
	s_and_b64 s[60:61], exec, s[58:59]
	s_or_b64 s[52:53], s[60:61], s[52:53]
	s_andn2_b64 s[54:55], s[54:55], exec
	s_and_b64 s[8:9], s[8:9], exec
	s_or_b64 s[54:55], s[54:55], s[8:9]
	s_andn2_b64 exec, exec, s[52:53]
	s_cbranch_execz .LBB2_95
.LBB2_89:                               ;   Parent Loop BB2_67 Depth=1
                                        ; =>  This Loop Header: Depth=2
                                        ;       Child Loop BB2_93 Depth 3
	v_cmp_lt_i32_e64 s[8:9], -1, v8
	s_or_b64 s[56:57], s[56:57], exec
	s_or_b64 s[58:59], s[58:59], exec
	s_and_saveexec_b64 s[60:61], s[8:9]
	s_cbranch_execz .LBB2_88
; %bb.90:                               ;   in Loop: Header=BB2_89 Depth=2
	s_and_saveexec_b64 s[62:63], vcc
	s_cbranch_execz .LBB2_87
; %bb.91:                               ;   in Loop: Header=BB2_89 Depth=2
	s_waitcnt lgkmcnt(0)
	v_subrev_u32_e32 v0, s33, v8
	v_lshl_add_u32 v0, v0, 3, s76
	v_sub_u32_e32 v11, s71, v8
	ds_read_b64 v[0:1], v0
	v_mul_lo_u32 v11, v11, v8
	v_lshrrev_b32_e32 v12, 31, v11
	v_add_lshl_u32 v11, v11, v12, 2
	v_and_b32_e32 v11, -8, v11
	v_add_u32_e32 v11, v10, v11
	s_mov_b64 s[64:65], 0
	v_mov_b32_e32 v12, v4
	v_mov_b32_e32 v13, v9
	s_branch .LBB2_93
.LBB2_92:                               ;   in Loop: Header=BB2_93 Depth=3
	s_or_b64 exec, exec, s[66:67]
	v_add_u32_e32 v13, s81, v13
	v_cmp_le_i32_e64 s[8:9], s41, v13
	s_or_b64 s[64:65], s[8:9], s[64:65]
	v_add_u32_e32 v12, s74, v12
	s_andn2_b64 exec, exec, s[64:65]
	s_cbranch_execz .LBB2_87
.LBB2_93:                               ;   Parent Loop BB2_67 Depth=1
                                        ;     Parent Loop BB2_89 Depth=2
                                        ; =>    This Inner Loop Header: Depth=3
	v_cmp_ge_i32_e64 s[8:9], v13, v8
	s_and_saveexec_b64 s[66:67], s[8:9]
	s_cbranch_execz .LBB2_92
; %bb.94:                               ;   in Loop: Header=BB2_93 Depth=3
	v_add_u32_e32 v14, s75, v12
	v_add_u32_e32 v18, v12, v11
	ds_read_b64 v[14:15], v14 offset:8
	ds_read_b64 v[16:17], v18
	s_waitcnt lgkmcnt(0)
	v_fma_f64 v[14:15], -v[0:1], v[14:15], v[16:17]
	ds_write_b64 v18, v[14:15]
	s_branch .LBB2_92
.LBB2_95:                               ;   in Loop: Header=BB2_67 Depth=1
	s_or_b64 exec, exec, s[52:53]
	s_mov_b64 s[8:9], 0
	s_mov_b64 s[52:53], -1
	s_orn2_b64 s[54:55], s[54:55], exec
.LBB2_96:                               ;   in Loop: Header=BB2_67 Depth=1
	s_or_b64 exec, exec, s[50:51]
	s_mov_b64 s[50:51], s[22:23]
	s_and_saveexec_b64 s[56:57], s[54:55]
	s_cbranch_execz .LBB2_98
; %bb.97:                               ;   in Loop: Header=BB2_67 Depth=1
	s_or_b64 s[50:51], s[22:23], exec
	s_waitcnt lgkmcnt(0)
	s_barrier
	s_waitcnt lgkmcnt(0)
                                        ; implicit-def: $sgpr52_sgpr53
                                        ; implicit-def: $sgpr8_sgpr9
.LBB2_98:                               ;   in Loop: Header=BB2_67 Depth=1
	s_or_b64 exec, exec, s[56:57]
	s_andn2_b64 s[30:31], s[30:31], exec
	s_and_b64 s[8:9], s[8:9], exec
	s_andn2_b64 s[24:25], s[24:25], exec
	s_andn2_b64 s[38:39], s[38:39], exec
	s_and_b64 s[52:53], s[52:53], exec
	s_or_b64 s[30:31], s[30:31], s[8:9]
	s_or_b64 s[24:25], s[24:25], s[8:9]
	s_andn2_b64 s[8:9], s[22:23], exec
	s_and_b64 s[22:23], s[50:51], exec
	s_or_b64 s[38:39], s[38:39], s[52:53]
	s_or_b64 s[22:23], s[8:9], s[22:23]
.LBB2_99:                               ;   in Loop: Header=BB2_67 Depth=1
	s_or_b64 exec, exec, s[48:49]
	s_mov_b64 s[8:9], -1
	s_and_saveexec_b64 s[48:49], s[22:23]
	s_cbranch_execz .LBB2_66
.LBB2_100:                              ;   in Loop: Header=BB2_67 Depth=1
	s_add_i32 s33, s33, 1
	s_cmp_eq_u32 s33, s41
	s_cselect_b64 s[8:9], -1, 0
	s_xor_b64 s[6:7], s[6:7], -1
	s_or_b64 s[6:7], s[6:7], s[8:9]
	s_andn2_b64 s[38:39], s[38:39], exec
	s_andn2_b64 s[30:31], s[30:31], exec
	;; [unrolled: 1-line block ×3, first 2 shown]
	s_orn2_b64 s[8:9], s[6:7], exec
	s_branch .LBB2_66
.LBB2_101:
	s_or_b64 exec, exec, s[16:17]
	s_mov_b64 s[6:7], 0
	s_mov_b64 s[38:39], -1
	s_mov_b64 s[50:51], 0
	s_mov_b64 s[48:49], 0
	s_and_saveexec_b64 s[4:5], s[18:19]
	s_cbranch_execz .LBB2_105
; %bb.102:
	s_mov_b64 s[12:13], -1
	s_mov_b64 s[8:9], 0
	s_and_saveexec_b64 s[16:17], s[14:15]
	s_xor_b64 s[14:15], exec, s[16:17]
; %bb.103:
	s_mov_b64 s[8:9], exec
	s_xor_b64 s[12:13], exec, -1
	s_and_b64 s[6:7], s[10:11], exec
; %bb.104:
	s_or_b64 exec, exec, s[14:15]
	s_xor_b64 s[38:39], exec, -1
	s_and_b64 s[48:49], s[12:13], exec
	s_and_b64 s[50:51], s[8:9], exec
	;; [unrolled: 1-line block ×3, first 2 shown]
.LBB2_105:
	s_or_b64 exec, exec, s[4:5]
	s_mov_b64 s[54:55], s[34:35]
	s_and_saveexec_b64 s[52:53], s[6:7]
	s_cbranch_execnz .LBB2_107
	s_branch .LBB2_114
.LBB2_106:
	s_mov_b64 s[6:7], -1
	s_mov_b64 s[50:51], 0
	s_mov_b64 s[48:49], 0
	;; [unrolled: 1-line block ×4, first 2 shown]
	s_and_saveexec_b64 s[52:53], s[6:7]
	s_cbranch_execz .LBB2_114
.LBB2_107:
	s_mov_b64 s[4:5], -1
	s_mov_b64 s[54:55], 0
	s_and_b64 vcc, exec, s[46:47]
	s_mov_b64 s[6:7], 0
	s_mov_b64 s[56:57], s[34:35]
	s_waitcnt lgkmcnt(0)
	s_barrier
	s_cbranch_vccnz .LBB2_122
; %bb.108:
	s_and_b64 vcc, exec, s[4:5]
	s_mov_b64 s[46:47], 0
	s_cbranch_vccnz .LBB2_149
.LBB2_109:
	s_and_saveexec_b64 s[4:5], s[6:7]
	s_cbranch_execnz .LBB2_166
.LBB2_110:
	s_or_b64 exec, exec, s[4:5]
	s_and_saveexec_b64 s[4:5], s[54:55]
	s_xor_b64 s[28:29], exec, s[4:5]
	s_cbranch_execnz .LBB2_167
.LBB2_111:
	s_or_b64 exec, exec, s[28:29]
	s_and_saveexec_b64 s[4:5], s[46:47]
	s_xor_b64 s[28:29], exec, s[4:5]
	s_cbranch_execz .LBB2_113
.LBB2_112:
	s_add_u32 s8, s26, 48
	s_addc_u32 s9, s27, 0
	s_getpc_b64 s[4:5]
	s_add_u32 s4, s4, .str.7@rel32@lo+4
	s_addc_u32 s5, s5, .str.7@rel32@hi+12
	s_getpc_b64 s[6:7]
	s_add_u32 s6, s6, __PRETTY_FUNCTION__._ZN9rocsolver6v33100L9idx_lowerIiEET_S2_S2_S2_@rel32@lo+4
	s_addc_u32 s7, s7, __PRETTY_FUNCTION__._ZN9rocsolver6v33100L9idx_lowerIiEET_S2_S2_S2_@rel32@hi+12
	v_mov_b32_e32 v0, s4
	v_mov_b32_e32 v1, s5
	;; [unrolled: 1-line block ×5, first 2 shown]
	s_getpc_b64 s[10:11]
	s_add_u32 s10, s10, __assert_fail@rel32@lo+4
	s_addc_u32 s11, s11, __assert_fail@rel32@hi+12
	s_swappc_b64 s[30:31], s[10:11]
	s_or_b64 s[56:57], s[56:57], exec
.LBB2_113:
	s_or_b64 exec, exec, s[28:29]
	s_andn2_b64 s[4:5], s[34:35], exec
	s_and_b64 s[6:7], s[56:57], exec
	s_or_b64 s[54:55], s[4:5], s[6:7]
	s_andn2_b64 s[50:51], s[50:51], exec
.LBB2_114:
	s_or_b64 exec, exec, s[52:53]
	s_and_saveexec_b64 s[4:5], s[50:51]
	s_xor_b64 s[28:29], exec, s[4:5]
	s_cbranch_execnz .LBB2_120
; %bb.115:
	s_or_b64 exec, exec, s[28:29]
	s_and_saveexec_b64 s[4:5], s[48:49]
	s_xor_b64 s[28:29], exec, s[4:5]
	s_cbranch_execnz .LBB2_121
.LBB2_116:
	s_or_b64 exec, exec, s[28:29]
	s_and_saveexec_b64 s[4:5], s[38:39]
	s_xor_b64 s[28:29], exec, s[4:5]
	s_cbranch_execz .LBB2_118
.LBB2_117:
	s_add_u32 s8, s26, 48
	s_addc_u32 s9, s27, 0
	s_getpc_b64 s[4:5]
	s_add_u32 s4, s4, .str.6@rel32@lo+4
	s_addc_u32 s5, s5, .str.6@rel32@hi+12
	s_getpc_b64 s[6:7]
	s_add_u32 s6, s6, __PRETTY_FUNCTION__._ZN9rocsolver6v33100L9idx_lowerIiEET_S2_S2_S2_@rel32@lo+4
	s_addc_u32 s7, s7, __PRETTY_FUNCTION__._ZN9rocsolver6v33100L9idx_lowerIiEET_S2_S2_S2_@rel32@hi+12
	s_waitcnt lgkmcnt(0)
	v_mov_b32_e32 v0, s4
	v_mov_b32_e32 v1, s5
	;; [unrolled: 1-line block ×5, first 2 shown]
	s_getpc_b64 s[10:11]
	s_add_u32 s10, s10, __assert_fail@rel32@lo+4
	s_addc_u32 s11, s11, __assert_fail@rel32@hi+12
	s_swappc_b64 s[30:31], s[10:11]
	s_or_b64 s[54:55], s[54:55], exec
.LBB2_118:
	s_or_b64 exec, exec, s[28:29]
	s_andn2_b64 s[4:5], s[34:35], exec
	s_and_b64 s[6:7], s[54:55], exec
	s_or_b64 s[34:35], s[4:5], s[6:7]
	s_andn2_b64 s[36:37], s[36:37], exec
	s_or_b64 exec, exec, s[44:45]
	s_and_saveexec_b64 s[4:5], s[36:37]
	s_xor_b64 s[28:29], exec, s[4:5]
	s_cbranch_execz .LBB2_55
.LBB2_119:
	s_add_u32 s8, s26, 48
	s_addc_u32 s9, s27, 0
	s_getpc_b64 s[4:5]
	s_add_u32 s4, s4, .str.8@rel32@lo+4
	s_addc_u32 s5, s5, .str.8@rel32@hi+12
	s_getpc_b64 s[6:7]
	s_add_u32 s6, s6, __PRETTY_FUNCTION__._ZN9rocsolver6v33100L9idx_lowerIiEET_S2_S2_S2_@rel32@lo+4
	s_addc_u32 s7, s7, __PRETTY_FUNCTION__._ZN9rocsolver6v33100L9idx_lowerIiEET_S2_S2_S2_@rel32@hi+12
	s_waitcnt lgkmcnt(0)
	v_mov_b32_e32 v0, s4
	v_mov_b32_e32 v1, s5
	;; [unrolled: 1-line block ×5, first 2 shown]
	s_getpc_b64 s[10:11]
	s_add_u32 s10, s10, __assert_fail@rel32@lo+4
	s_addc_u32 s11, s11, __assert_fail@rel32@hi+12
	s_swappc_b64 s[30:31], s[10:11]
	s_or_b64 s[34:35], s[34:35], exec
	s_or_b64 exec, exec, s[28:29]
	s_and_saveexec_b64 s[4:5], s[42:43]
	s_xor_b64 s[28:29], exec, s[4:5]
	s_cbranch_execnz .LBB2_56
	s_branch .LBB2_57
.LBB2_120:
	s_add_u32 s8, s26, 48
	s_addc_u32 s9, s27, 0
	s_getpc_b64 s[4:5]
	s_add_u32 s4, s4, .str.6@rel32@lo+4
	s_addc_u32 s5, s5, .str.6@rel32@hi+12
	s_getpc_b64 s[6:7]
	s_add_u32 s6, s6, __PRETTY_FUNCTION__._ZN9rocsolver6v33100L9idx_lowerIiEET_S2_S2_S2_@rel32@lo+4
	s_addc_u32 s7, s7, __PRETTY_FUNCTION__._ZN9rocsolver6v33100L9idx_lowerIiEET_S2_S2_S2_@rel32@hi+12
	s_waitcnt lgkmcnt(0)
	v_mov_b32_e32 v0, s4
	v_mov_b32_e32 v1, s5
	;; [unrolled: 1-line block ×5, first 2 shown]
	s_getpc_b64 s[10:11]
	s_add_u32 s10, s10, __assert_fail@rel32@lo+4
	s_addc_u32 s11, s11, __assert_fail@rel32@hi+12
	s_swappc_b64 s[30:31], s[10:11]
	s_or_b64 s[54:55], s[54:55], exec
	s_or_b64 exec, exec, s[28:29]
	s_and_saveexec_b64 s[4:5], s[48:49]
	s_xor_b64 s[28:29], exec, s[4:5]
	s_cbranch_execz .LBB2_116
.LBB2_121:
	s_add_u32 s8, s26, 48
	s_addc_u32 s9, s27, 0
	s_getpc_b64 s[4:5]
	s_add_u32 s4, s4, .str.8@rel32@lo+4
	s_addc_u32 s5, s5, .str.8@rel32@hi+12
	s_getpc_b64 s[6:7]
	s_add_u32 s6, s6, __PRETTY_FUNCTION__._ZN9rocsolver6v33100L9idx_lowerIiEET_S2_S2_S2_@rel32@lo+4
	s_addc_u32 s7, s7, __PRETTY_FUNCTION__._ZN9rocsolver6v33100L9idx_lowerIiEET_S2_S2_S2_@rel32@hi+12
	s_waitcnt lgkmcnt(0)
	v_mov_b32_e32 v0, s4
	v_mov_b32_e32 v1, s5
	;; [unrolled: 1-line block ×5, first 2 shown]
	s_getpc_b64 s[10:11]
	s_add_u32 s10, s10, __assert_fail@rel32@lo+4
	s_addc_u32 s11, s11, __assert_fail@rel32@hi+12
	s_swappc_b64 s[30:31], s[10:11]
	s_or_b64 s[54:55], s[54:55], exec
	s_or_b64 exec, exec, s[28:29]
	s_and_saveexec_b64 s[4:5], s[38:39]
	s_xor_b64 s[28:29], exec, s[4:5]
	s_cbranch_execnz .LBB2_117
	s_branch .LBB2_118
.LBB2_122:
	s_mov_b64 s[6:7], -1
	s_mov_b64 s[56:57], s[34:35]
	s_and_saveexec_b64 s[46:47], s[28:29]
	s_cbranch_execz .LBB2_148
; %bb.123:
	s_lshl_b32 s4, s41, 1
	s_or_b32 s33, s4, 1
	v_lshl_add_u32 v2, v42, 3, 0
	s_lshl_b32 s84, s81, 3
	s_mov_b64 s[12:13], 0
	v_mov_b32_e32 v3, v43
                                        ; implicit-def: $sgpr10_sgpr11
                                        ; implicit-def: $sgpr8_sgpr9
                                        ; implicit-def: $sgpr6_sgpr7
                                        ; implicit-def: $sgpr14_sgpr15
	s_branch .LBB2_125
.LBB2_124:                              ;   in Loop: Header=BB2_125 Depth=1
	s_or_b64 exec, exec, s[22:23]
	s_xor_b64 s[18:19], s[20:21], -1
	s_xor_b64 s[4:5], s[4:5], -1
	s_and_b64 s[16:17], exec, s[16:17]
	s_or_b64 s[12:13], s[16:17], s[12:13]
	s_andn2_b64 s[6:7], s[6:7], exec
	s_and_b64 s[16:17], s[14:15], exec
	s_or_b64 s[6:7], s[6:7], s[16:17]
	s_andn2_b64 s[8:9], s[8:9], exec
	s_and_b64 s[16:17], s[18:19], exec
	s_andn2_b64 s[10:11], s[10:11], exec
	s_and_b64 s[4:5], s[4:5], exec
	s_or_b64 s[8:9], s[8:9], s[16:17]
	s_or_b64 s[10:11], s[10:11], s[4:5]
	s_andn2_b64 exec, exec, s[12:13]
	s_cbranch_execz .LBB2_137
.LBB2_125:                              ; =>This Loop Header: Depth=1
                                        ;     Child Loop BB2_130 Depth 2
	v_add_u32_e32 v0, v3, v42
	v_cmp_gt_i32_e32 vcc, s41, v0
	s_mov_b64 s[18:19], -1
                                        ; implicit-def: $sgpr4_sgpr5
                                        ; implicit-def: $sgpr20_sgpr21
                                        ; implicit-def: $sgpr30_sgpr31
	s_and_saveexec_b64 s[16:17], vcc
	s_cbranch_execz .LBB2_135
; %bb.126:                              ;   in Loop: Header=BB2_125 Depth=1
	v_sub_u32_e32 v1, s33, v3
	v_mul_lo_u32 v1, v1, v3
	v_mad_i64_i32 v[4:5], s[4:5], v3, s80, 0
	v_lshrrev_b32_e32 v6, 31, v1
	v_lshlrev_b64 v[4:5], 3, v[4:5]
	v_add_lshl_u32 v1, v1, v6, 2
	v_mov_b32_e32 v7, s83
	v_add_co_u32_e64 v4, s[4:5], s82, v4
	v_and_b32_e32 v1, -8, v1
	v_cmp_lt_i32_e32 vcc, -1, v3
	v_addc_co_u32_e64 v5, s[4:5], v7, v5, s[4:5]
	v_add_u32_e32 v6, v2, v1
	s_mov_b64 s[20:21], 0
                                        ; implicit-def: $sgpr18_sgpr19
                                        ; implicit-def: $sgpr30_sgpr31
                                        ; implicit-def: $sgpr24_sgpr25
                                        ; implicit-def: $sgpr22_sgpr23
                                        ; implicit-def: $sgpr56_sgpr57
                                        ; implicit-def: $sgpr58_sgpr59
                                        ; implicit-def: $sgpr60_sgpr61
                                        ; implicit-def: $sgpr62_sgpr63
                                        ; implicit-def: $sgpr64_sgpr65
	s_branch .LBB2_130
.LBB2_127:                              ;   in Loop: Header=BB2_130 Depth=2
	s_or_b64 exec, exec, s[72:73]
	s_mov_b64 s[4:5], exec
	s_orn2_b64 s[76:77], s[74:75], exec
	s_xor_b64 s[74:75], exec, -1
	s_orn2_b64 s[72:73], s[78:79], exec
.LBB2_128:                              ;   in Loop: Header=BB2_130 Depth=2
	s_or_b64 exec, exec, s[70:71]
	s_andn2_b64 s[62:63], s[62:63], exec
	s_and_b64 s[68:69], s[68:69], exec
	s_andn2_b64 s[58:59], s[58:59], exec
	s_and_b64 s[4:5], s[4:5], exec
	;; [unrolled: 2-line block ×3, first 2 shown]
	s_or_b64 s[62:63], s[62:63], s[68:69]
	s_andn2_b64 s[60:61], s[60:61], exec
	s_and_b64 s[68:69], s[74:75], exec
	s_or_b64 s[58:59], s[58:59], s[4:5]
	s_andn2_b64 s[4:5], s[56:57], exec
	s_and_b64 s[56:57], s[72:73], exec
	s_or_b64 s[64:65], s[64:65], s[70:71]
	s_or_b64 s[60:61], s[60:61], s[68:69]
	;; [unrolled: 1-line block ×3, first 2 shown]
.LBB2_129:                              ;   in Loop: Header=BB2_130 Depth=2
	s_or_b64 exec, exec, s[66:67]
	s_xor_b64 s[4:5], s[64:65], -1
	s_and_b64 s[66:67], exec, s[56:57]
	s_or_b64 s[20:21], s[66:67], s[20:21]
	s_andn2_b64 s[22:23], s[22:23], exec
	s_and_b64 s[66:67], s[62:63], exec
	s_or_b64 s[22:23], s[22:23], s[66:67]
	s_andn2_b64 s[24:25], s[24:25], exec
	s_and_b64 s[66:67], s[60:61], exec
	;; [unrolled: 3-line block ×3, first 2 shown]
	s_andn2_b64 s[18:19], s[18:19], exec
	s_and_b64 s[4:5], s[4:5], exec
	s_or_b64 s[30:31], s[30:31], s[66:67]
	s_or_b64 s[18:19], s[18:19], s[4:5]
	s_andn2_b64 exec, exec, s[20:21]
	s_cbranch_execz .LBB2_134
.LBB2_130:                              ;   Parent Loop BB2_125 Depth=1
                                        ; =>  This Inner Loop Header: Depth=2
	v_cmp_lt_i32_e64 s[4:5], -1, v0
	s_or_b64 s[64:65], s[64:65], exec
	s_or_b64 s[62:63], s[62:63], exec
	s_andn2_b64 s[60:61], s[60:61], exec
	s_andn2_b64 s[58:59], s[58:59], exec
	s_or_b64 s[56:57], s[56:57], exec
	s_and_saveexec_b64 s[66:67], s[4:5]
	s_cbranch_execz .LBB2_129
; %bb.131:                              ;   in Loop: Header=BB2_130 Depth=2
	s_mov_b64 s[68:69], 0
	s_mov_b64 s[72:73], -1
	s_mov_b64 s[4:5], 0
	s_mov_b64 s[74:75], -1
	s_mov_b64 s[76:77], -1
	s_and_saveexec_b64 s[70:71], vcc
	s_cbranch_execz .LBB2_128
; %bb.132:                              ;   in Loop: Header=BB2_130 Depth=2
	v_cmp_ge_u32_e64 s[4:5], v0, v3
	s_mov_b64 s[78:79], -1
	s_and_saveexec_b64 s[72:73], s[4:5]
	s_cbranch_execz .LBB2_127
; %bb.133:                              ;   in Loop: Header=BB2_130 Depth=2
	v_ashrrev_i32_e32 v1, 31, v0
	ds_read_b64 v[8:9], v6
	v_lshlrev_b64 v[10:11], 3, v[0:1]
	v_add_co_u32_e64 v10, s[4:5], v4, v10
	v_addc_co_u32_e64 v11, s[4:5], v5, v11, s[4:5]
	v_add_u32_e32 v0, s81, v0
	v_cmp_le_i32_e64 s[4:5], s41, v0
	v_add_u32_e32 v6, s84, v6
	s_xor_b64 s[74:75], exec, -1
	s_orn2_b64 s[78:79], s[4:5], exec
	s_waitcnt lgkmcnt(0)
	global_store_dwordx2 v[10:11], v[8:9], off
	s_branch .LBB2_127
.LBB2_134:                              ;   in Loop: Header=BB2_125 Depth=1
	s_or_b64 exec, exec, s[20:21]
	s_and_b64 s[30:31], s[30:31], exec
	s_and_b64 s[20:21], s[24:25], exec
	;; [unrolled: 1-line block ×3, first 2 shown]
	s_orn2_b64 s[18:19], s[18:19], exec
.LBB2_135:                              ;   in Loop: Header=BB2_125 Depth=1
	s_or_b64 exec, exec, s[16:17]
	s_andn2_b64 s[14:15], s[14:15], exec
	s_and_b64 s[22:23], s[30:31], exec
	s_mov_b64 s[16:17], -1
	s_or_b64 s[14:15], s[14:15], s[22:23]
	s_and_saveexec_b64 s[22:23], s[18:19]
	s_cbranch_execz .LBB2_124
; %bb.136:                              ;   in Loop: Header=BB2_125 Depth=1
	v_add_u32_e32 v3, s40, v3
	v_cmp_le_i32_e32 vcc, s41, v3
	s_andn2_b64 s[14:15], s[14:15], exec
	s_andn2_b64 s[20:21], s[20:21], exec
	;; [unrolled: 1-line block ×3, first 2 shown]
	s_orn2_b64 s[16:17], vcc, exec
	s_branch .LBB2_124
.LBB2_137:
	s_or_b64 exec, exec, s[12:13]
	s_mov_b64 s[58:59], 0
	s_mov_b64 s[62:63], s[34:35]
	s_and_saveexec_b64 s[4:5], s[10:11]
	s_xor_b64 s[56:57], exec, s[4:5]
	s_cbranch_execz .LBB2_145
; %bb.138:
	s_mov_b64 s[60:61], 0
	s_mov_b64 s[62:63], s[34:35]
	s_and_saveexec_b64 s[4:5], s[8:9]
	s_xor_b64 s[58:59], exec, s[4:5]
	s_cbranch_execz .LBB2_142
; %bb.139:
	s_mov_b64 s[4:5], -1
	s_mov_b64 s[8:9], s[34:35]
	s_and_saveexec_b64 s[10:11], s[6:7]
	s_xor_b64 s[60:61], exec, s[10:11]
	s_cbranch_execz .LBB2_141
; %bb.140:
	s_add_u32 s8, s26, 48
	s_addc_u32 s9, s27, 0
	s_getpc_b64 s[4:5]
	s_add_u32 s4, s4, .str.8@rel32@lo+4
	s_addc_u32 s5, s5, .str.8@rel32@hi+12
	s_getpc_b64 s[6:7]
	s_add_u32 s6, s6, __PRETTY_FUNCTION__._ZN9rocsolver6v33100L9idx_lowerIiEET_S2_S2_S2_@rel32@lo+4
	s_addc_u32 s7, s7, __PRETTY_FUNCTION__._ZN9rocsolver6v33100L9idx_lowerIiEET_S2_S2_S2_@rel32@hi+12
	v_mov_b32_e32 v0, s4
	v_mov_b32_e32 v1, s5
	;; [unrolled: 1-line block ×5, first 2 shown]
	s_getpc_b64 s[10:11]
	s_add_u32 s10, s10, __assert_fail@rel32@lo+4
	s_addc_u32 s11, s11, __assert_fail@rel32@hi+12
	s_swappc_b64 s[30:31], s[10:11]
	s_or_b64 s[8:9], s[34:35], exec
	s_xor_b64 s[4:5], exec, -1
.LBB2_141:
	s_or_b64 exec, exec, s[60:61]
	s_andn2_b64 s[6:7], s[34:35], exec
	s_and_b64 s[8:9], s[8:9], exec
	s_or_b64 s[62:63], s[6:7], s[8:9]
	s_and_b64 s[60:61], s[4:5], exec
.LBB2_142:
	s_andn2_saveexec_b64 s[58:59], s[58:59]
	s_cbranch_execz .LBB2_144
; %bb.143:
	s_add_u32 s8, s26, 48
	s_addc_u32 s9, s27, 0
	s_getpc_b64 s[4:5]
	s_add_u32 s4, s4, .str.7@rel32@lo+4
	s_addc_u32 s5, s5, .str.7@rel32@hi+12
	s_getpc_b64 s[6:7]
	s_add_u32 s6, s6, __PRETTY_FUNCTION__._ZN9rocsolver6v33100L9idx_lowerIiEET_S2_S2_S2_@rel32@lo+4
	s_addc_u32 s7, s7, __PRETTY_FUNCTION__._ZN9rocsolver6v33100L9idx_lowerIiEET_S2_S2_S2_@rel32@hi+12
	v_mov_b32_e32 v0, s4
	v_mov_b32_e32 v1, s5
	;; [unrolled: 1-line block ×5, first 2 shown]
	s_getpc_b64 s[10:11]
	s_add_u32 s10, s10, __assert_fail@rel32@lo+4
	s_addc_u32 s11, s11, __assert_fail@rel32@hi+12
	s_swappc_b64 s[30:31], s[10:11]
	s_or_b64 s[62:63], s[62:63], exec
.LBB2_144:
	s_or_b64 exec, exec, s[58:59]
	s_andn2_b64 s[4:5], s[34:35], exec
	s_and_b64 s[6:7], s[62:63], exec
	s_or_b64 s[62:63], s[4:5], s[6:7]
	s_and_b64 s[58:59], s[60:61], exec
.LBB2_145:
	s_andn2_saveexec_b64 s[56:57], s[56:57]
	s_cbranch_execz .LBB2_147
; %bb.146:
	s_add_u32 s8, s26, 48
	s_addc_u32 s9, s27, 0
	s_getpc_b64 s[4:5]
	s_add_u32 s4, s4, .str.6@rel32@lo+4
	s_addc_u32 s5, s5, .str.6@rel32@hi+12
	s_getpc_b64 s[6:7]
	s_add_u32 s6, s6, __PRETTY_FUNCTION__._ZN9rocsolver6v33100L9idx_lowerIiEET_S2_S2_S2_@rel32@lo+4
	s_addc_u32 s7, s7, __PRETTY_FUNCTION__._ZN9rocsolver6v33100L9idx_lowerIiEET_S2_S2_S2_@rel32@hi+12
	v_mov_b32_e32 v0, s4
	v_mov_b32_e32 v1, s5
	;; [unrolled: 1-line block ×5, first 2 shown]
	s_getpc_b64 s[10:11]
	s_add_u32 s10, s10, __assert_fail@rel32@lo+4
	s_addc_u32 s11, s11, __assert_fail@rel32@hi+12
	s_swappc_b64 s[30:31], s[10:11]
	s_or_b64 s[62:63], s[62:63], exec
.LBB2_147:
	s_or_b64 exec, exec, s[56:57]
	s_andn2_b64 s[4:5], s[34:35], exec
	s_and_b64 s[6:7], s[62:63], exec
	s_or_b64 s[56:57], s[4:5], s[6:7]
	s_orn2_b64 s[6:7], s[58:59], exec
.LBB2_148:
	s_or_b64 exec, exec, s[46:47]
	s_mov_b64 s[46:47], 0
	s_branch .LBB2_109
.LBB2_149:
	s_mov_b64 s[6:7], -1
	s_mov_b64 s[54:55], 0
	s_and_saveexec_b64 s[4:5], s[28:29]
	s_cbranch_execz .LBB2_165
; %bb.150:
	s_lshl_b32 s6, s41, 1
	v_sub_u32_e32 v0, s6, v42
	v_add_u32_e32 v2, 1, v0
	v_lshlrev_b32_e32 v0, 3, v43
	v_lshlrev_b32_e32 v1, 3, v42
	v_sub_u32_e32 v0, v0, v1
	s_lshl_b32 s6, s81, 3
	v_add_u32_e32 v3, 0, v0
	s_lshl_b32 s33, s40, 3
	s_sub_i32 s62, 0, s6
	s_mov_b64 s[10:11], 0
                                        ; implicit-def: $sgpr8_sgpr9
                                        ; implicit-def: $sgpr6_sgpr7
	s_branch .LBB2_152
.LBB2_151:                              ;   in Loop: Header=BB2_152 Depth=1
	s_or_b64 exec, exec, s[18:19]
	s_xor_b64 s[14:15], s[20:21], -1
	s_xor_b64 s[16:17], s[16:17], -1
	s_and_b64 s[12:13], exec, s[12:13]
	s_or_b64 s[10:11], s[12:13], s[10:11]
	s_andn2_b64 s[6:7], s[6:7], exec
	s_and_b64 s[12:13], s[14:15], exec
	s_or_b64 s[6:7], s[6:7], s[12:13]
	s_andn2_b64 s[8:9], s[8:9], exec
	s_and_b64 s[12:13], s[16:17], exec
	s_or_b64 s[8:9], s[8:9], s[12:13]
	s_andn2_b64 exec, exec, s[10:11]
	s_cbranch_execz .LBB2_162
.LBB2_152:                              ; =>This Loop Header: Depth=1
                                        ;     Child Loop BB2_156 Depth 2
	v_cmp_le_i32_e32 vcc, v42, v43
	s_mov_b64 s[14:15], -1
                                        ; implicit-def: $sgpr16_sgpr17
                                        ; implicit-def: $sgpr20_sgpr21
	s_and_saveexec_b64 s[12:13], vcc
	s_cbranch_execz .LBB2_160
; %bb.153:                              ;   in Loop: Header=BB2_152 Depth=1
	v_mad_i64_i32 v[0:1], s[14:15], v43, s80, 0
	v_lshlrev_b64 v[0:1], 3, v[0:1]
	v_mov_b32_e32 v5, s83
	v_add_co_u32_e32 v4, vcc, s82, v0
	v_addc_co_u32_e32 v5, vcc, v5, v1, vcc
	s_mov_b64 s[16:17], 0
	v_mov_b32_e32 v6, v3
	v_mov_b32_e32 v7, v2
	;; [unrolled: 1-line block ×3, first 2 shown]
                                        ; implicit-def: $sgpr14_sgpr15
                                        ; implicit-def: $sgpr20_sgpr21
                                        ; implicit-def: $sgpr18_sgpr19
                                        ; implicit-def: $sgpr28_sgpr29
                                        ; implicit-def: $sgpr22_sgpr23
                                        ; implicit-def: $sgpr24_sgpr25
                                        ; implicit-def: $sgpr30_sgpr31
	s_branch .LBB2_156
.LBB2_154:                              ;   in Loop: Header=BB2_156 Depth=2
	s_or_b64 exec, exec, s[54:55]
	s_andn2_b64 s[30:31], s[30:31], exec
	s_and_b64 s[54:55], s[60:61], exec
	s_or_b64 s[30:31], s[30:31], s[54:55]
	s_andn2_b64 s[28:29], s[28:29], exec
	s_and_b64 s[54:55], s[58:59], exec
	s_andn2_b64 s[24:25], s[24:25], exec
	s_or_b64 s[22:23], s[22:23], exec
	s_or_b64 s[28:29], s[28:29], s[54:55]
.LBB2_155:                              ;   in Loop: Header=BB2_156 Depth=2
	s_or_b64 exec, exec, s[46:47]
	s_xor_b64 s[46:47], s[30:31], -1
	s_and_b64 s[54:55], exec, s[28:29]
	s_or_b64 s[16:17], s[54:55], s[16:17]
	s_andn2_b64 s[18:19], s[18:19], exec
	s_and_b64 s[54:55], s[24:25], exec
	s_or_b64 s[18:19], s[18:19], s[54:55]
	s_andn2_b64 s[20:21], s[20:21], exec
	s_and_b64 s[54:55], s[22:23], exec
	s_andn2_b64 s[14:15], s[14:15], exec
	s_and_b64 s[46:47], s[46:47], exec
	s_or_b64 s[20:21], s[20:21], s[54:55]
	s_or_b64 s[14:15], s[14:15], s[46:47]
	s_andn2_b64 exec, exec, s[16:17]
	s_cbranch_execz .LBB2_159
.LBB2_156:                              ;   Parent Loop BB2_152 Depth=1
                                        ; =>  This Inner Loop Header: Depth=2
	v_cmp_lt_i32_e32 vcc, -1, v0
	s_or_b64 s[30:31], s[30:31], exec
	s_or_b64 s[24:25], s[24:25], exec
	s_andn2_b64 s[22:23], s[22:23], exec
	s_or_b64 s[28:29], s[28:29], exec
	s_and_saveexec_b64 s[46:47], vcc
	s_cbranch_execz .LBB2_155
; %bb.157:                              ;   in Loop: Header=BB2_156 Depth=2
	v_cmp_ge_u32_e32 vcc, v43, v0
	s_mov_b64 s[58:59], -1
	s_mov_b64 s[60:61], -1
	s_and_saveexec_b64 s[54:55], vcc
	s_cbranch_execz .LBB2_154
; %bb.158:                              ;   in Loop: Header=BB2_156 Depth=2
	v_mul_lo_u32 v8, v7, v0
	v_lshrrev_b32_e32 v9, 31, v8
	v_add_lshl_u32 v8, v8, v9, 2
	v_and_b32_e32 v8, -8, v8
	v_ashrrev_i32_e32 v1, 31, v0
	v_add_u32_e32 v8, v6, v8
	ds_read_b64 v[8:9], v8
	v_lshlrev_b64 v[10:11], 3, v[0:1]
	v_add_co_u32_e32 v10, vcc, v4, v10
	v_addc_co_u32_e32 v11, vcc, v5, v11, vcc
	v_add_u32_e32 v0, s81, v0
	v_cmp_gt_i32_e32 vcc, v0, v43
	v_subrev_u32_e32 v7, s81, v7
	v_add_u32_e32 v6, s62, v6
	s_xor_b64 s[60:61], exec, -1
	s_orn2_b64 s[58:59], vcc, exec
	s_waitcnt lgkmcnt(0)
	global_store_dwordx2 v[10:11], v[8:9], off
	s_branch .LBB2_154
.LBB2_159:                              ;   in Loop: Header=BB2_152 Depth=1
	s_or_b64 exec, exec, s[16:17]
	s_and_b64 s[20:21], s[20:21], exec
	s_and_b64 s[16:17], s[18:19], exec
	s_orn2_b64 s[14:15], s[14:15], exec
.LBB2_160:                              ;   in Loop: Header=BB2_152 Depth=1
	s_or_b64 exec, exec, s[12:13]
	s_mov_b64 s[12:13], -1
	s_and_saveexec_b64 s[18:19], s[14:15]
	s_cbranch_execz .LBB2_151
; %bb.161:                              ;   in Loop: Header=BB2_152 Depth=1
	v_add_u32_e32 v43, s40, v43
	v_cmp_le_i32_e32 vcc, s41, v43
	v_add_u32_e32 v3, s33, v3
	s_andn2_b64 s[20:21], s[20:21], exec
	s_andn2_b64 s[16:17], s[16:17], exec
	s_orn2_b64 s[12:13], vcc, exec
	s_branch .LBB2_151
.LBB2_162:
	s_or_b64 exec, exec, s[10:11]
	s_mov_b64 s[10:11], 0
	s_mov_b64 s[14:15], -1
	s_mov_b64 s[12:13], 0
	s_and_saveexec_b64 s[16:17], s[8:9]
	s_xor_b64 s[8:9], exec, s[16:17]
; %bb.163:
	s_mov_b64 s[12:13], exec
	s_xor_b64 s[14:15], exec, -1
	s_and_b64 s[10:11], s[6:7], exec
; %bb.164:
	s_or_b64 exec, exec, s[8:9]
	s_and_b64 s[46:47], s[14:15], exec
	s_and_b64 s[54:55], s[12:13], exec
	s_orn2_b64 s[6:7], s[10:11], exec
.LBB2_165:
	s_or_b64 exec, exec, s[4:5]
	s_and_saveexec_b64 s[4:5], s[6:7]
	s_cbranch_execz .LBB2_110
.LBB2_166:
	s_barrier
	s_andn2_b64 s[54:55], s[54:55], exec
	s_or_b64 exec, exec, s[4:5]
	s_and_saveexec_b64 s[4:5], s[54:55]
	s_xor_b64 s[28:29], exec, s[4:5]
	s_cbranch_execz .LBB2_111
.LBB2_167:
	s_add_u32 s8, s26, 48
	s_addc_u32 s9, s27, 0
	s_getpc_b64 s[4:5]
	s_add_u32 s4, s4, .str.8@rel32@lo+4
	s_addc_u32 s5, s5, .str.8@rel32@hi+12
	s_getpc_b64 s[6:7]
	s_add_u32 s6, s6, __PRETTY_FUNCTION__._ZN9rocsolver6v33100L9idx_lowerIiEET_S2_S2_S2_@rel32@lo+4
	s_addc_u32 s7, s7, __PRETTY_FUNCTION__._ZN9rocsolver6v33100L9idx_lowerIiEET_S2_S2_S2_@rel32@hi+12
	v_mov_b32_e32 v0, s4
	v_mov_b32_e32 v1, s5
	;; [unrolled: 1-line block ×5, first 2 shown]
	s_getpc_b64 s[10:11]
	s_add_u32 s10, s10, __assert_fail@rel32@lo+4
	s_addc_u32 s11, s11, __assert_fail@rel32@hi+12
	s_swappc_b64 s[30:31], s[10:11]
	s_or_b64 s[56:57], s[56:57], exec
	s_or_b64 exec, exec, s[28:29]
	s_and_saveexec_b64 s[4:5], s[46:47]
	s_xor_b64 s[28:29], exec, s[4:5]
	s_cbranch_execnz .LBB2_112
	s_branch .LBB2_113
	.section	.rodata,"a",@progbits
	.p2align	6, 0x0
	.amdhsa_kernel _ZN9rocsolver6v33100L18potf2_kernel_smallIdiiPdEEvbT0_T2_lS3_lPT1_
		.amdhsa_group_segment_fixed_size 0
		.amdhsa_private_segment_fixed_size 64
		.amdhsa_kernarg_size 304
		.amdhsa_user_sgpr_count 8
		.amdhsa_user_sgpr_private_segment_buffer 1
		.amdhsa_user_sgpr_dispatch_ptr 0
		.amdhsa_user_sgpr_queue_ptr 0
		.amdhsa_user_sgpr_kernarg_segment_ptr 1
		.amdhsa_user_sgpr_dispatch_id 0
		.amdhsa_user_sgpr_flat_scratch_init 1
		.amdhsa_user_sgpr_kernarg_preload_length 0
		.amdhsa_user_sgpr_kernarg_preload_offset 0
		.amdhsa_user_sgpr_private_segment_size 0
		.amdhsa_uses_dynamic_stack 0
		.amdhsa_system_sgpr_private_segment_wavefront_offset 1
		.amdhsa_system_sgpr_workgroup_id_x 1
		.amdhsa_system_sgpr_workgroup_id_y 0
		.amdhsa_system_sgpr_workgroup_id_z 1
		.amdhsa_system_sgpr_workgroup_info 0
		.amdhsa_system_vgpr_workitem_id 2
		.amdhsa_next_free_vgpr 51
		.amdhsa_next_free_sgpr 85
		.amdhsa_accum_offset 52
		.amdhsa_reserve_vcc 1
		.amdhsa_reserve_flat_scratch 1
		.amdhsa_float_round_mode_32 0
		.amdhsa_float_round_mode_16_64 0
		.amdhsa_float_denorm_mode_32 3
		.amdhsa_float_denorm_mode_16_64 3
		.amdhsa_dx10_clamp 1
		.amdhsa_ieee_mode 1
		.amdhsa_fp16_overflow 0
		.amdhsa_tg_split 0
		.amdhsa_exception_fp_ieee_invalid_op 0
		.amdhsa_exception_fp_denorm_src 0
		.amdhsa_exception_fp_ieee_div_zero 0
		.amdhsa_exception_fp_ieee_overflow 0
		.amdhsa_exception_fp_ieee_underflow 0
		.amdhsa_exception_fp_ieee_inexact 0
		.amdhsa_exception_int_div_zero 0
	.end_amdhsa_kernel
	.section	.text._ZN9rocsolver6v33100L18potf2_kernel_smallIdiiPdEEvbT0_T2_lS3_lPT1_,"axG",@progbits,_ZN9rocsolver6v33100L18potf2_kernel_smallIdiiPdEEvbT0_T2_lS3_lPT1_,comdat
.Lfunc_end2:
	.size	_ZN9rocsolver6v33100L18potf2_kernel_smallIdiiPdEEvbT0_T2_lS3_lPT1_, .Lfunc_end2-_ZN9rocsolver6v33100L18potf2_kernel_smallIdiiPdEEvbT0_T2_lS3_lPT1_
                                        ; -- End function
	.section	.AMDGPU.csdata,"",@progbits
; Kernel info:
; codeLenInByte = 6340
; NumSgprs: 91
; NumVgprs: 51
; NumAgprs: 0
; TotalNumVgprs: 51
; ScratchSize: 64
; MemoryBound: 0
; FloatMode: 240
; IeeeMode: 1
; LDSByteSize: 0 bytes/workgroup (compile time only)
; SGPRBlocks: 11
; VGPRBlocks: 6
; NumSGPRsForWavesPerEU: 91
; NumVGPRsForWavesPerEU: 51
; AccumOffset: 52
; Occupancy: 8
; WaveLimiterHint : 1
; COMPUTE_PGM_RSRC2:SCRATCH_EN: 1
; COMPUTE_PGM_RSRC2:USER_SGPR: 8
; COMPUTE_PGM_RSRC2:TRAP_HANDLER: 0
; COMPUTE_PGM_RSRC2:TGID_X_EN: 1
; COMPUTE_PGM_RSRC2:TGID_Y_EN: 0
; COMPUTE_PGM_RSRC2:TGID_Z_EN: 1
; COMPUTE_PGM_RSRC2:TIDIG_COMP_CNT: 2
; COMPUTE_PGM_RSRC3_GFX90A:ACCUM_OFFSET: 12
; COMPUTE_PGM_RSRC3_GFX90A:TG_SPLIT: 0
	.section	.text._ZN9rocsolver6v33100L18potf2_kernel_smallIdiiPKPdEEvbT0_T2_lS5_lPT1_,"axG",@progbits,_ZN9rocsolver6v33100L18potf2_kernel_smallIdiiPKPdEEvbT0_T2_lS5_lPT1_,comdat
	.globl	_ZN9rocsolver6v33100L18potf2_kernel_smallIdiiPKPdEEvbT0_T2_lS5_lPT1_ ; -- Begin function _ZN9rocsolver6v33100L18potf2_kernel_smallIdiiPKPdEEvbT0_T2_lS5_lPT1_
	.p2align	8
	.type	_ZN9rocsolver6v33100L18potf2_kernel_smallIdiiPKPdEEvbT0_T2_lS5_lPT1_,@function
_ZN9rocsolver6v33100L18potf2_kernel_smallIdiiPKPdEEvbT0_T2_lS5_lPT1_: ; @_ZN9rocsolver6v33100L18potf2_kernel_smallIdiiPKPdEEvbT0_T2_lS5_lPT1_
; %bb.0:
	s_load_dwordx2 s[28:29], s[4:5], 0x3c
	s_add_u32 flat_scratch_lo, s6, s10
	s_addc_u32 flat_scratch_hi, s7, 0
	s_add_u32 s0, s0, s10
	s_mov_b64 s[26:27], s[4:5]
	s_waitcnt lgkmcnt(0)
	v_cmp_eq_u16_e64 s[4:5], s29, 1
	s_addc_u32 s1, s1, 0
	s_mov_b32 s46, s9
	v_mov_b32_e32 v41, v0
	s_and_b64 vcc, exec, s[4:5]
	s_mov_b32 s32, 0
	s_cbranch_vccnz .LBB3_2
; %bb.1:
	s_add_u32 s8, s26, 48
	s_addc_u32 s9, s27, 0
	s_getpc_b64 s[4:5]
	s_add_u32 s4, s4, .str@rel32@lo+4
	s_addc_u32 s5, s5, .str@rel32@hi+12
	s_getpc_b64 s[6:7]
	s_add_u32 s6, s6, __PRETTY_FUNCTION__._ZN9rocsolver6v33100L18potf2_kernel_smallIdiiPKPdEEvbT0_T2_lS5_lPT1_@rel32@lo+4
	s_addc_u32 s7, s7, __PRETTY_FUNCTION__._ZN9rocsolver6v33100L18potf2_kernel_smallIdiiPKPdEEvbT0_T2_lS5_lPT1_@rel32@hi+12
	v_mov_b32_e32 v0, s4
	v_mov_b32_e32 v1, s5
	;; [unrolled: 1-line block ×5, first 2 shown]
	s_getpc_b64 s[10:11]
	s_add_u32 s10, s10, __assert_fail@rel32@lo+4
	s_addc_u32 s11, s11, __assert_fail@rel32@hi+12
	s_swappc_b64 s[30:31], s[10:11]
	s_mov_b64 s[34:35], -1
	s_cbranch_execz .LBB3_3
	s_branch .LBB3_18
.LBB3_2:
	s_mov_b64 s[34:35], 0
.LBB3_3:
	s_load_dwordx4 s[4:7], s[26:27], 0x8
	s_waitcnt lgkmcnt(0)
	s_cmp_lg_u64 s[4:5], 0
	s_cbranch_scc0 .LBB3_21
; %bb.4:
	s_load_dwordx2 s[48:49], s[26:27], 0x28
	s_waitcnt lgkmcnt(0)
	s_cmp_lg_u64 s[48:49], 0
	s_cbranch_scc0 .LBB3_22
; %bb.5:
	s_mov_b32 s47, 0
	s_lshl_b64 s[8:9], s[46:47], 3
	s_add_u32 s4, s4, s8
	s_addc_u32 s5, s5, s9
	v_mov_b32_e32 v0, 0
	global_load_dwordx2 v[0:1], v0, s[4:5]
	s_mov_b64 s[8:9], 0
	s_waitcnt vmcnt(0)
	v_cmp_ne_u64_e32 vcc, 0, v[0:1]
	s_cbranch_vccz .LBB3_23
; %bb.6:
	s_load_dwordx2 s[36:37], s[26:27], 0x0
	s_load_dword s80, s[26:27], 0x18
	s_lshl_b64 s[4:5], s[6:7], 3
	v_mov_b32_e32 v2, s5
	v_add_co_u32_e32 v42, vcc, s4, v0
	s_waitcnt lgkmcnt(0)
	s_bitcmp1_b32 s36, 0
	s_cselect_b64 s[6:7], -1, 0
	v_addc_co_u32_e32 v43, vcc, v1, v2, vcc
	s_xor_b64 s[44:45], s[6:7], -1
	v_bfe_u32 v45, v41, 10, 10
	s_mov_b64 s[4:5], -1
	v_and_b32_e32 v44, 0x3ff, v41
	s_lshr_b32 s36, s28, 16
	s_and_b32 s81, s28, 0xffff
	v_cmp_gt_i32_e64 s[28:29], s37, v45
	s_and_b64 vcc, exec, s[44:45]
	s_barrier
	s_cbranch_vccnz .LBB3_24
; %bb.7:
	s_mov_b64 s[40:41], 0
	s_and_b64 vcc, exec, s[4:5]
	s_mov_b64 s[38:39], 0
	s_cbranch_vccnz .LBB3_51
.LBB3_8:
	s_and_saveexec_b64 s[42:43], s[8:9]
	s_cbranch_execnz .LBB3_68
.LBB3_9:
	s_or_b64 exec, exec, s[42:43]
	s_and_saveexec_b64 s[4:5], s[40:41]
	s_xor_b64 s[28:29], exec, s[4:5]
	s_cbranch_execnz .LBB3_123
.LBB3_10:
	s_or_b64 exec, exec, s[28:29]
	s_and_saveexec_b64 s[4:5], s[38:39]
	s_xor_b64 s[28:29], exec, s[4:5]
	s_cbranch_execz .LBB3_12
.LBB3_11:
	s_add_u32 s8, s26, 48
	s_addc_u32 s9, s27, 0
	s_getpc_b64 s[4:5]
	s_add_u32 s4, s4, .str.7@rel32@lo+4
	s_addc_u32 s5, s5, .str.7@rel32@hi+12
	s_getpc_b64 s[6:7]
	s_add_u32 s6, s6, __PRETTY_FUNCTION__._ZN9rocsolver6v33100L9idx_lowerIiEET_S2_S2_S2_@rel32@lo+4
	s_addc_u32 s7, s7, __PRETTY_FUNCTION__._ZN9rocsolver6v33100L9idx_lowerIiEET_S2_S2_S2_@rel32@hi+12
	s_waitcnt lgkmcnt(0)
	v_mov_b32_e32 v0, s4
	v_mov_b32_e32 v1, s5
	;; [unrolled: 1-line block ×5, first 2 shown]
	s_getpc_b64 s[10:11]
	s_add_u32 s10, s10, __assert_fail@rel32@lo+4
	s_addc_u32 s11, s11, __assert_fail@rel32@hi+12
	s_swappc_b64 s[30:31], s[10:11]
	s_or_b64 s[34:35], s[34:35], exec
.LBB3_12:
	s_or_b64 exec, exec, s[28:29]
	s_branch .LBB3_14
.LBB3_13:
	s_add_u32 s8, s26, 48
	s_addc_u32 s9, s27, 0
	s_getpc_b64 s[4:5]
	s_add_u32 s4, s4, .str.4@rel32@lo+4
	s_addc_u32 s5, s5, .str.4@rel32@hi+12
	s_getpc_b64 s[6:7]
	s_add_u32 s6, s6, __PRETTY_FUNCTION__._ZN9rocsolver6v33100L18potf2_kernel_smallIdiiPKPdEEvbT0_T2_lS5_lPT1_@rel32@lo+4
	s_addc_u32 s7, s7, __PRETTY_FUNCTION__._ZN9rocsolver6v33100L18potf2_kernel_smallIdiiPKPdEEvbT0_T2_lS5_lPT1_@rel32@hi+12
	s_waitcnt lgkmcnt(0)
	v_mov_b32_e32 v0, s4
	v_mov_b32_e32 v1, s5
	;; [unrolled: 1-line block ×5, first 2 shown]
	s_getpc_b64 s[10:11]
	s_add_u32 s10, s10, __assert_fail@rel32@lo+4
	s_addc_u32 s11, s11, __assert_fail@rel32@hi+12
	s_swappc_b64 s[30:31], s[10:11]
	s_or_b64 s[34:35], s[34:35], exec
.LBB3_14:
	s_branch .LBB3_16
.LBB3_15:
	s_add_u32 s8, s26, 48
	s_addc_u32 s9, s27, 0
	s_getpc_b64 s[4:5]
	s_add_u32 s4, s4, .str.3@rel32@lo+4
	s_addc_u32 s5, s5, .str.3@rel32@hi+12
	s_getpc_b64 s[6:7]
	s_add_u32 s6, s6, __PRETTY_FUNCTION__._ZN9rocsolver6v33100L18potf2_kernel_smallIdiiPKPdEEvbT0_T2_lS5_lPT1_@rel32@lo+4
	s_addc_u32 s7, s7, __PRETTY_FUNCTION__._ZN9rocsolver6v33100L18potf2_kernel_smallIdiiPKPdEEvbT0_T2_lS5_lPT1_@rel32@hi+12
	s_waitcnt lgkmcnt(0)
	v_mov_b32_e32 v0, s4
	v_mov_b32_e32 v1, s5
	;; [unrolled: 1-line block ×5, first 2 shown]
	s_getpc_b64 s[10:11]
	s_add_u32 s10, s10, __assert_fail@rel32@lo+4
	s_addc_u32 s11, s11, __assert_fail@rel32@hi+12
	s_swappc_b64 s[30:31], s[10:11]
	s_or_b64 s[34:35], s[34:35], exec
.LBB3_16:
	s_branch .LBB3_18
.LBB3_17:
	s_add_u32 s8, s26, 48
	s_addc_u32 s9, s27, 0
	s_getpc_b64 s[4:5]
	s_add_u32 s4, s4, .str.2@rel32@lo+4
	s_addc_u32 s5, s5, .str.2@rel32@hi+12
	s_getpc_b64 s[6:7]
	s_add_u32 s6, s6, __PRETTY_FUNCTION__._ZN9rocsolver6v33100L18potf2_kernel_smallIdiiPKPdEEvbT0_T2_lS5_lPT1_@rel32@lo+4
	s_addc_u32 s7, s7, __PRETTY_FUNCTION__._ZN9rocsolver6v33100L18potf2_kernel_smallIdiiPKPdEEvbT0_T2_lS5_lPT1_@rel32@hi+12
	s_waitcnt lgkmcnt(0)
	v_mov_b32_e32 v0, s4
	v_mov_b32_e32 v1, s5
	;; [unrolled: 1-line block ×5, first 2 shown]
	s_getpc_b64 s[10:11]
	s_add_u32 s10, s10, __assert_fail@rel32@lo+4
	s_addc_u32 s11, s11, __assert_fail@rel32@hi+12
	s_swappc_b64 s[30:31], s[10:11]
	s_or_b64 s[34:35], s[34:35], exec
.LBB3_18:
	s_and_saveexec_b64 s[4:5], s[34:35]
; %bb.19:
	; divergent unreachable
; %bb.20:
	s_endpgm
.LBB3_21:
	s_cbranch_execnz .LBB3_17
	s_branch .LBB3_18
.LBB3_22:
	s_cbranch_execnz .LBB3_15
	s_branch .LBB3_16
.LBB3_23:
	s_cbranch_execnz .LBB3_13
	s_branch .LBB3_14
.LBB3_24:
	s_mov_b64 s[8:9], -1
	s_and_saveexec_b64 s[38:39], s[28:29]
	s_cbranch_execz .LBB3_50
; %bb.25:
	s_lshl_b32 s4, s37, 1
	s_or_b32 s33, s4, 1
	v_lshl_add_u32 v2, v44, 3, 0
	s_lshl_b32 s70, s81, 3
	s_mov_b64 s[12:13], 0
	v_mov_b32_e32 v3, v45
                                        ; implicit-def: $sgpr10_sgpr11
                                        ; implicit-def: $sgpr8_sgpr9
                                        ; implicit-def: $sgpr6_sgpr7
                                        ; implicit-def: $sgpr14_sgpr15
	s_branch .LBB3_27
.LBB3_26:                               ;   in Loop: Header=BB3_27 Depth=1
	s_or_b64 exec, exec, s[22:23]
	s_xor_b64 s[18:19], s[20:21], -1
	s_xor_b64 s[4:5], s[4:5], -1
	s_and_b64 s[16:17], exec, s[16:17]
	s_or_b64 s[12:13], s[16:17], s[12:13]
	s_andn2_b64 s[6:7], s[6:7], exec
	s_and_b64 s[16:17], s[14:15], exec
	s_or_b64 s[6:7], s[6:7], s[16:17]
	s_andn2_b64 s[8:9], s[8:9], exec
	s_and_b64 s[16:17], s[18:19], exec
	s_andn2_b64 s[10:11], s[10:11], exec
	s_and_b64 s[4:5], s[4:5], exec
	s_or_b64 s[8:9], s[8:9], s[16:17]
	s_or_b64 s[10:11], s[10:11], s[4:5]
	s_andn2_b64 exec, exec, s[12:13]
	s_cbranch_execz .LBB3_39
.LBB3_27:                               ; =>This Loop Header: Depth=1
                                        ;     Child Loop BB3_32 Depth 2
	v_add_u32_e32 v0, v3, v44
	v_cmp_gt_i32_e32 vcc, s37, v0
	s_mov_b64 s[18:19], -1
                                        ; implicit-def: $sgpr4_sgpr5
                                        ; implicit-def: $sgpr20_sgpr21
                                        ; implicit-def: $sgpr30_sgpr31
	s_and_saveexec_b64 s[16:17], vcc
	s_cbranch_execz .LBB3_37
; %bb.28:                               ;   in Loop: Header=BB3_27 Depth=1
	v_sub_u32_e32 v1, s33, v3
	v_mul_lo_u32 v1, v1, v3
	v_mad_i64_i32 v[4:5], s[4:5], v3, s80, 0
	v_lshrrev_b32_e32 v6, 31, v1
	v_lshlrev_b64 v[4:5], 3, v[4:5]
	v_add_lshl_u32 v1, v1, v6, 2
	v_add_co_u32_e64 v4, s[4:5], v42, v4
	v_and_b32_e32 v1, -8, v1
	v_cmp_lt_i32_e32 vcc, -1, v3
	v_addc_co_u32_e64 v5, s[4:5], v43, v5, s[4:5]
	v_add_u32_e32 v6, v2, v1
	s_mov_b64 s[20:21], 0
                                        ; implicit-def: $sgpr18_sgpr19
                                        ; implicit-def: $sgpr30_sgpr31
                                        ; implicit-def: $sgpr24_sgpr25
                                        ; implicit-def: $sgpr22_sgpr23
                                        ; implicit-def: $sgpr40_sgpr41
                                        ; implicit-def: $sgpr42_sgpr43
                                        ; implicit-def: $sgpr50_sgpr51
                                        ; implicit-def: $sgpr52_sgpr53
                                        ; implicit-def: $sgpr54_sgpr55
	s_branch .LBB3_32
.LBB3_29:                               ;   in Loop: Header=BB3_32 Depth=2
	s_or_b64 exec, exec, s[62:63]
	s_mov_b64 s[4:5], exec
	s_orn2_b64 s[66:67], s[64:65], exec
	s_xor_b64 s[64:65], exec, -1
	s_orn2_b64 s[62:63], s[68:69], exec
.LBB3_30:                               ;   in Loop: Header=BB3_32 Depth=2
	s_or_b64 exec, exec, s[60:61]
	s_andn2_b64 s[52:53], s[52:53], exec
	s_and_b64 s[58:59], s[58:59], exec
	s_andn2_b64 s[42:43], s[42:43], exec
	s_and_b64 s[4:5], s[4:5], exec
	;; [unrolled: 2-line block ×3, first 2 shown]
	s_or_b64 s[52:53], s[52:53], s[58:59]
	s_andn2_b64 s[50:51], s[50:51], exec
	s_and_b64 s[58:59], s[64:65], exec
	s_or_b64 s[42:43], s[42:43], s[4:5]
	s_andn2_b64 s[4:5], s[40:41], exec
	s_and_b64 s[40:41], s[62:63], exec
	s_or_b64 s[54:55], s[54:55], s[60:61]
	s_or_b64 s[50:51], s[50:51], s[58:59]
	;; [unrolled: 1-line block ×3, first 2 shown]
.LBB3_31:                               ;   in Loop: Header=BB3_32 Depth=2
	s_or_b64 exec, exec, s[56:57]
	s_xor_b64 s[4:5], s[54:55], -1
	s_and_b64 s[56:57], exec, s[40:41]
	s_or_b64 s[20:21], s[56:57], s[20:21]
	s_andn2_b64 s[22:23], s[22:23], exec
	s_and_b64 s[56:57], s[52:53], exec
	s_or_b64 s[22:23], s[22:23], s[56:57]
	s_andn2_b64 s[24:25], s[24:25], exec
	s_and_b64 s[56:57], s[50:51], exec
	;; [unrolled: 3-line block ×3, first 2 shown]
	s_andn2_b64 s[18:19], s[18:19], exec
	s_and_b64 s[4:5], s[4:5], exec
	s_or_b64 s[30:31], s[30:31], s[56:57]
	s_or_b64 s[18:19], s[18:19], s[4:5]
	s_andn2_b64 exec, exec, s[20:21]
	s_cbranch_execz .LBB3_36
.LBB3_32:                               ;   Parent Loop BB3_27 Depth=1
                                        ; =>  This Inner Loop Header: Depth=2
	v_cmp_lt_i32_e64 s[4:5], -1, v0
	s_or_b64 s[54:55], s[54:55], exec
	s_or_b64 s[52:53], s[52:53], exec
	s_andn2_b64 s[50:51], s[50:51], exec
	s_andn2_b64 s[42:43], s[42:43], exec
	s_or_b64 s[40:41], s[40:41], exec
	s_and_saveexec_b64 s[56:57], s[4:5]
	s_cbranch_execz .LBB3_31
; %bb.33:                               ;   in Loop: Header=BB3_32 Depth=2
	s_mov_b64 s[58:59], 0
	s_mov_b64 s[62:63], -1
	s_mov_b64 s[4:5], 0
	s_mov_b64 s[64:65], -1
	s_mov_b64 s[66:67], -1
	s_and_saveexec_b64 s[60:61], vcc
	s_cbranch_execz .LBB3_30
; %bb.34:                               ;   in Loop: Header=BB3_32 Depth=2
	v_cmp_ge_u32_e64 s[4:5], v0, v3
	s_mov_b64 s[68:69], -1
	s_and_saveexec_b64 s[62:63], s[4:5]
	s_cbranch_execz .LBB3_29
; %bb.35:                               ;   in Loop: Header=BB3_32 Depth=2
	v_ashrrev_i32_e32 v1, 31, v0
	v_lshlrev_b64 v[8:9], 3, v[0:1]
	v_add_co_u32_e64 v8, s[4:5], v4, v8
	v_addc_co_u32_e64 v9, s[4:5], v5, v9, s[4:5]
	flat_load_dwordx2 v[8:9], v[8:9]
	v_add_u32_e32 v0, s81, v0
	v_cmp_le_i32_e64 s[4:5], s37, v0
	s_xor_b64 s[64:65], exec, -1
	s_orn2_b64 s[68:69], s[4:5], exec
	s_waitcnt vmcnt(0) lgkmcnt(0)
	ds_write_b64 v6, v[8:9]
	v_add_u32_e32 v6, s70, v6
	s_branch .LBB3_29
.LBB3_36:                               ;   in Loop: Header=BB3_27 Depth=1
	s_or_b64 exec, exec, s[20:21]
	s_and_b64 s[30:31], s[30:31], exec
	s_and_b64 s[20:21], s[24:25], exec
	;; [unrolled: 1-line block ×3, first 2 shown]
	s_orn2_b64 s[18:19], s[18:19], exec
.LBB3_37:                               ;   in Loop: Header=BB3_27 Depth=1
	s_or_b64 exec, exec, s[16:17]
	s_andn2_b64 s[14:15], s[14:15], exec
	s_and_b64 s[22:23], s[30:31], exec
	s_mov_b64 s[16:17], -1
	s_or_b64 s[14:15], s[14:15], s[22:23]
	s_and_saveexec_b64 s[22:23], s[18:19]
	s_cbranch_execz .LBB3_26
; %bb.38:                               ;   in Loop: Header=BB3_27 Depth=1
	v_add_u32_e32 v3, s36, v3
	v_cmp_le_i32_e32 vcc, s37, v3
	s_andn2_b64 s[14:15], s[14:15], exec
	s_andn2_b64 s[20:21], s[20:21], exec
	;; [unrolled: 1-line block ×3, first 2 shown]
	s_orn2_b64 s[16:17], vcc, exec
	s_branch .LBB3_26
.LBB3_39:
	s_or_b64 exec, exec, s[12:13]
	s_mov_b64 s[42:43], 0
	s_mov_b64 s[52:53], s[34:35]
	s_and_saveexec_b64 s[4:5], s[10:11]
	s_xor_b64 s[40:41], exec, s[4:5]
	s_cbranch_execz .LBB3_47
; %bb.40:
	s_mov_b64 s[50:51], 0
	s_mov_b64 s[52:53], s[34:35]
	s_and_saveexec_b64 s[4:5], s[8:9]
	s_xor_b64 s[42:43], exec, s[4:5]
	s_cbranch_execz .LBB3_44
; %bb.41:
	s_mov_b64 s[4:5], -1
	s_mov_b64 s[8:9], s[34:35]
	s_and_saveexec_b64 s[10:11], s[6:7]
	s_xor_b64 s[50:51], exec, s[10:11]
	s_cbranch_execz .LBB3_43
; %bb.42:
	s_add_u32 s8, s26, 48
	s_addc_u32 s9, s27, 0
	s_getpc_b64 s[4:5]
	s_add_u32 s4, s4, .str.8@rel32@lo+4
	s_addc_u32 s5, s5, .str.8@rel32@hi+12
	s_getpc_b64 s[6:7]
	s_add_u32 s6, s6, __PRETTY_FUNCTION__._ZN9rocsolver6v33100L9idx_lowerIiEET_S2_S2_S2_@rel32@lo+4
	s_addc_u32 s7, s7, __PRETTY_FUNCTION__._ZN9rocsolver6v33100L9idx_lowerIiEET_S2_S2_S2_@rel32@hi+12
	v_mov_b32_e32 v0, s4
	v_mov_b32_e32 v1, s5
	v_mov_b32_e32 v2, 0x51
	v_mov_b32_e32 v3, s6
	v_mov_b32_e32 v4, s7
	s_getpc_b64 s[10:11]
	s_add_u32 s10, s10, __assert_fail@rel32@lo+4
	s_addc_u32 s11, s11, __assert_fail@rel32@hi+12
	s_swappc_b64 s[30:31], s[10:11]
	s_or_b64 s[8:9], s[34:35], exec
	s_xor_b64 s[4:5], exec, -1
.LBB3_43:
	s_or_b64 exec, exec, s[50:51]
	s_andn2_b64 s[6:7], s[34:35], exec
	s_and_b64 s[8:9], s[8:9], exec
	s_or_b64 s[52:53], s[6:7], s[8:9]
	s_and_b64 s[50:51], s[4:5], exec
.LBB3_44:
	s_andn2_saveexec_b64 s[42:43], s[42:43]
	s_cbranch_execz .LBB3_46
; %bb.45:
	s_add_u32 s8, s26, 48
	s_addc_u32 s9, s27, 0
	s_getpc_b64 s[4:5]
	s_add_u32 s4, s4, .str.7@rel32@lo+4
	s_addc_u32 s5, s5, .str.7@rel32@hi+12
	s_getpc_b64 s[6:7]
	s_add_u32 s6, s6, __PRETTY_FUNCTION__._ZN9rocsolver6v33100L9idx_lowerIiEET_S2_S2_S2_@rel32@lo+4
	s_addc_u32 s7, s7, __PRETTY_FUNCTION__._ZN9rocsolver6v33100L9idx_lowerIiEET_S2_S2_S2_@rel32@hi+12
	v_mov_b32_e32 v0, s4
	v_mov_b32_e32 v1, s5
	;; [unrolled: 1-line block ×5, first 2 shown]
	s_getpc_b64 s[10:11]
	s_add_u32 s10, s10, __assert_fail@rel32@lo+4
	s_addc_u32 s11, s11, __assert_fail@rel32@hi+12
	s_swappc_b64 s[30:31], s[10:11]
	s_or_b64 s[52:53], s[52:53], exec
.LBB3_46:
	s_or_b64 exec, exec, s[42:43]
	s_andn2_b64 s[4:5], s[34:35], exec
	s_and_b64 s[6:7], s[52:53], exec
	s_or_b64 s[52:53], s[4:5], s[6:7]
	s_and_b64 s[42:43], s[50:51], exec
.LBB3_47:
	s_andn2_saveexec_b64 s[40:41], s[40:41]
	s_cbranch_execz .LBB3_49
; %bb.48:
	s_add_u32 s8, s26, 48
	s_addc_u32 s9, s27, 0
	s_getpc_b64 s[4:5]
	s_add_u32 s4, s4, .str.6@rel32@lo+4
	s_addc_u32 s5, s5, .str.6@rel32@hi+12
	s_getpc_b64 s[6:7]
	s_add_u32 s6, s6, __PRETTY_FUNCTION__._ZN9rocsolver6v33100L9idx_lowerIiEET_S2_S2_S2_@rel32@lo+4
	s_addc_u32 s7, s7, __PRETTY_FUNCTION__._ZN9rocsolver6v33100L9idx_lowerIiEET_S2_S2_S2_@rel32@hi+12
	v_mov_b32_e32 v0, s4
	v_mov_b32_e32 v1, s5
	;; [unrolled: 1-line block ×5, first 2 shown]
	s_getpc_b64 s[10:11]
	s_add_u32 s10, s10, __assert_fail@rel32@lo+4
	s_addc_u32 s11, s11, __assert_fail@rel32@hi+12
	s_swappc_b64 s[30:31], s[10:11]
	s_or_b64 s[52:53], s[52:53], exec
.LBB3_49:
	s_or_b64 exec, exec, s[40:41]
	s_andn2_b64 s[4:5], s[34:35], exec
	s_and_b64 s[6:7], s[52:53], exec
	s_or_b64 s[34:35], s[4:5], s[6:7]
	s_orn2_b64 s[8:9], s[42:43], exec
.LBB3_50:
	s_or_b64 exec, exec, s[38:39]
	s_mov_b64 s[40:41], 0
	s_mov_b64 s[38:39], 0
	s_branch .LBB3_8
.LBB3_51:
	s_mov_b64 s[8:9], -1
	s_and_saveexec_b64 s[4:5], s[28:29]
	s_cbranch_execz .LBB3_67
; %bb.52:
	s_lshl_b32 s6, s37, 1
	v_sub_u32_e32 v0, s6, v44
	v_add_u32_e32 v2, 1, v0
	v_lshlrev_b32_e32 v0, 3, v45
	v_lshlrev_b32_e32 v1, 3, v44
	v_sub_u32_e32 v0, v0, v1
	s_lshl_b32 s6, s81, 3
	v_add_u32_e32 v3, 0, v0
	s_lshl_b32 s33, s36, 3
	s_sub_i32 s54, 0, s6
	s_mov_b64 s[10:11], 0
	v_mov_b32_e32 v4, v45
                                        ; implicit-def: $sgpr8_sgpr9
                                        ; implicit-def: $sgpr6_sgpr7
	s_branch .LBB3_54
.LBB3_53:                               ;   in Loop: Header=BB3_54 Depth=1
	s_or_b64 exec, exec, s[18:19]
	s_xor_b64 s[14:15], s[20:21], -1
	s_xor_b64 s[16:17], s[16:17], -1
	s_and_b64 s[12:13], exec, s[12:13]
	s_or_b64 s[10:11], s[12:13], s[10:11]
	s_andn2_b64 s[6:7], s[6:7], exec
	s_and_b64 s[12:13], s[14:15], exec
	s_or_b64 s[6:7], s[6:7], s[12:13]
	s_andn2_b64 s[8:9], s[8:9], exec
	s_and_b64 s[12:13], s[16:17], exec
	s_or_b64 s[8:9], s[8:9], s[12:13]
	s_andn2_b64 exec, exec, s[10:11]
	s_cbranch_execz .LBB3_64
.LBB3_54:                               ; =>This Loop Header: Depth=1
                                        ;     Child Loop BB3_58 Depth 2
	v_cmp_le_i32_e32 vcc, v44, v4
	s_mov_b64 s[14:15], -1
                                        ; implicit-def: $sgpr16_sgpr17
                                        ; implicit-def: $sgpr20_sgpr21
	s_and_saveexec_b64 s[12:13], vcc
	s_cbranch_execz .LBB3_62
; %bb.55:                               ;   in Loop: Header=BB3_54 Depth=1
	v_mad_i64_i32 v[0:1], s[14:15], v4, s80, 0
	v_lshlrev_b64 v[0:1], 3, v[0:1]
	v_add_co_u32_e32 v5, vcc, v42, v0
	v_addc_co_u32_e32 v6, vcc, v43, v1, vcc
	s_mov_b64 s[16:17], 0
	v_mov_b32_e32 v7, v3
	v_mov_b32_e32 v8, v2
	;; [unrolled: 1-line block ×3, first 2 shown]
                                        ; implicit-def: $sgpr14_sgpr15
                                        ; implicit-def: $sgpr20_sgpr21
                                        ; implicit-def: $sgpr18_sgpr19
                                        ; implicit-def: $sgpr30_sgpr31
                                        ; implicit-def: $sgpr22_sgpr23
                                        ; implicit-def: $sgpr24_sgpr25
                                        ; implicit-def: $sgpr38_sgpr39
	s_branch .LBB3_58
.LBB3_56:                               ;   in Loop: Header=BB3_58 Depth=2
	s_or_b64 exec, exec, s[42:43]
	s_andn2_b64 s[38:39], s[38:39], exec
	s_and_b64 s[42:43], s[50:51], exec
	s_or_b64 s[38:39], s[38:39], s[42:43]
	s_andn2_b64 s[30:31], s[30:31], exec
	s_and_b64 s[42:43], s[52:53], exec
	s_andn2_b64 s[24:25], s[24:25], exec
	s_or_b64 s[22:23], s[22:23], exec
	s_or_b64 s[30:31], s[30:31], s[42:43]
.LBB3_57:                               ;   in Loop: Header=BB3_58 Depth=2
	s_or_b64 exec, exec, s[40:41]
	s_xor_b64 s[40:41], s[38:39], -1
	s_and_b64 s[42:43], exec, s[30:31]
	s_or_b64 s[16:17], s[42:43], s[16:17]
	s_andn2_b64 s[18:19], s[18:19], exec
	s_and_b64 s[42:43], s[24:25], exec
	s_or_b64 s[18:19], s[18:19], s[42:43]
	s_andn2_b64 s[20:21], s[20:21], exec
	s_and_b64 s[42:43], s[22:23], exec
	s_andn2_b64 s[14:15], s[14:15], exec
	s_and_b64 s[40:41], s[40:41], exec
	s_or_b64 s[20:21], s[20:21], s[42:43]
	s_or_b64 s[14:15], s[14:15], s[40:41]
	s_andn2_b64 exec, exec, s[16:17]
	s_cbranch_execz .LBB3_61
.LBB3_58:                               ;   Parent Loop BB3_54 Depth=1
                                        ; =>  This Inner Loop Header: Depth=2
	v_cmp_lt_i32_e32 vcc, -1, v0
	s_or_b64 s[38:39], s[38:39], exec
	s_or_b64 s[24:25], s[24:25], exec
	s_andn2_b64 s[22:23], s[22:23], exec
	s_or_b64 s[30:31], s[30:31], exec
	s_and_saveexec_b64 s[40:41], vcc
	s_cbranch_execz .LBB3_57
; %bb.59:                               ;   in Loop: Header=BB3_58 Depth=2
	v_cmp_ge_u32_e32 vcc, v4, v0
	s_mov_b64 s[52:53], -1
	s_mov_b64 s[50:51], -1
	s_and_saveexec_b64 s[42:43], vcc
	s_cbranch_execz .LBB3_56
; %bb.60:                               ;   in Loop: Header=BB3_58 Depth=2
	v_ashrrev_i32_e32 v1, 31, v0
	v_lshlrev_b64 v[10:11], 3, v[0:1]
	v_add_co_u32_e32 v10, vcc, v5, v10
	v_addc_co_u32_e32 v11, vcc, v6, v11, vcc
	flat_load_dwordx2 v[10:11], v[10:11]
	v_mul_lo_u32 v1, v8, v0
	v_lshrrev_b32_e32 v9, 31, v1
	v_add_u32_e32 v0, s81, v0
	v_add_lshl_u32 v1, v1, v9, 2
	v_cmp_gt_i32_e32 vcc, v0, v4
	v_and_b32_e32 v1, -8, v1
	v_subrev_u32_e32 v8, s81, v8
	s_xor_b64 s[50:51], exec, -1
	v_add_u32_e32 v1, v7, v1
	v_add_u32_e32 v7, s54, v7
	s_orn2_b64 s[52:53], vcc, exec
	s_waitcnt vmcnt(0) lgkmcnt(0)
	ds_write_b64 v1, v[10:11]
	s_branch .LBB3_56
.LBB3_61:                               ;   in Loop: Header=BB3_54 Depth=1
	s_or_b64 exec, exec, s[16:17]
	s_and_b64 s[20:21], s[20:21], exec
	s_and_b64 s[16:17], s[18:19], exec
	s_orn2_b64 s[14:15], s[14:15], exec
.LBB3_62:                               ;   in Loop: Header=BB3_54 Depth=1
	s_or_b64 exec, exec, s[12:13]
	s_mov_b64 s[12:13], -1
	s_and_saveexec_b64 s[18:19], s[14:15]
	s_cbranch_execz .LBB3_53
; %bb.63:                               ;   in Loop: Header=BB3_54 Depth=1
	v_add_u32_e32 v4, s36, v4
	v_cmp_le_i32_e32 vcc, s37, v4
	v_add_u32_e32 v3, s33, v3
	s_andn2_b64 s[20:21], s[20:21], exec
	s_andn2_b64 s[16:17], s[16:17], exec
	s_orn2_b64 s[12:13], vcc, exec
	s_branch .LBB3_53
.LBB3_64:
	s_or_b64 exec, exec, s[10:11]
	s_mov_b64 s[10:11], 0
	s_mov_b64 s[14:15], -1
	s_mov_b64 s[12:13], 0
	s_and_saveexec_b64 s[16:17], s[8:9]
	s_xor_b64 s[8:9], exec, s[16:17]
; %bb.65:
	s_mov_b64 s[12:13], exec
	s_xor_b64 s[14:15], exec, -1
	s_and_b64 s[10:11], s[6:7], exec
; %bb.66:
	s_or_b64 exec, exec, s[8:9]
	s_and_b64 s[38:39], s[14:15], exec
	s_and_b64 s[40:41], s[12:13], exec
	s_orn2_b64 s[8:9], s[10:11], exec
.LBB3_67:
	s_or_b64 exec, exec, s[4:5]
	s_and_saveexec_b64 s[42:43], s[8:9]
	s_cbranch_execz .LBB3_9
.LBB3_68:
	s_cmp_gt_i32 s37, 0
	s_mov_b32 s33, 0
	s_waitcnt lgkmcnt(0)
	s_barrier
	s_cbranch_scc0 .LBB3_110
; %bb.69:
	s_mul_i32 s70, s36, s81
	v_bfe_u32 v1, v41, 20, 10
	s_lshl_b64 s[4:5], s[46:47], 2
	v_mul_u32_u24_e32 v0, s81, v45
	v_mul_lo_u32 v1, s70, v1
	s_add_u32 s12, s48, s4
	v_add3_u32 v2, v0, v44, v1
	s_addc_u32 s13, s49, s5
	s_lshl_b32 s4, s37, 1
	v_lshlrev_b32_e32 v0, 3, v45
	s_mov_b32 s20, 0
	s_or_b32 s71, s4, 1
	v_cmp_eq_u32_e64 s[4:5], 0, v2
	s_lshl_b32 s72, s70, 3
	v_sub_u32_e32 v3, 0, v0
	s_lshl_b32 s73, s36, 3
	v_lshl_add_u32 v4, v44, 3, 0
	s_lshl_b32 s74, s81, 3
	s_mov_b64 s[16:17], 0
	v_mov_b32_e32 v5, 0x180
	v_mov_b32_e32 v6, 0
	s_brev_b32 s21, 8
	v_mov_b32_e32 v7, 0x260
                                        ; implicit-def: $sgpr18_sgpr19
                                        ; implicit-def: $sgpr14_sgpr15
                                        ; implicit-def: $sgpr10_sgpr11
	s_branch .LBB3_71
.LBB3_70:                               ;   in Loop: Header=BB3_71 Depth=1
	s_or_b64 exec, exec, s[48:49]
	s_xor_b64 s[6:7], s[46:47], -1
	s_xor_b64 s[22:23], s[30:31], -1
	;; [unrolled: 1-line block ×3, first 2 shown]
	s_and_b64 s[8:9], exec, s[8:9]
	s_or_b64 s[16:17], s[8:9], s[16:17]
	s_andn2_b64 s[8:9], s[10:11], exec
	s_and_b64 s[6:7], s[6:7], exec
	s_or_b64 s[10:11], s[8:9], s[6:7]
	s_andn2_b64 s[6:7], s[14:15], exec
	s_and_b64 s[8:9], s[22:23], exec
	;; [unrolled: 3-line block ×3, first 2 shown]
	s_or_b64 s[18:19], s[6:7], s[8:9]
	s_andn2_b64 exec, exec, s[16:17]
	s_cbranch_execz .LBB3_105
.LBB3_71:                               ; =>This Loop Header: Depth=1
                                        ;     Child Loop BB3_83 Depth 2
                                        ;     Child Loop BB3_93 Depth 2
                                        ;       Child Loop BB3_97 Depth 3
	s_sub_i32 s6, s71, s33
	s_mul_i32 s6, s6, s33
	s_lshr_b32 s7, s6, 31
	s_add_i32 s6, s6, s7
	s_ashr_i32 s50, s6, 1
	s_lshl_b32 s75, s50, 3
	s_add_i32 s76, s75, 0
	s_waitcnt lgkmcnt(0)
	v_mov_b32_e32 v0, s76
	ds_read_b64 v[0:1], v0
	s_mov_b64 s[22:23], 0
	s_mov_b64 s[8:9], -1
	s_waitcnt lgkmcnt(0)
	v_cmp_class_f64_e64 s[6:7], v[0:1], v5
	s_and_b64 vcc, exec, s[6:7]
	s_cbranch_vccnz .LBB3_76
; %bb.72:                               ;   in Loop: Header=BB3_71 Depth=1
	s_and_saveexec_b64 s[8:9], s[4:5]
	s_cbranch_execz .LBB3_75
; %bb.73:                               ;   in Loop: Header=BB3_71 Depth=1
	global_load_dword v8, v6, s[12:13]
	s_waitcnt vmcnt(0)
	v_cmp_ne_u32_e32 vcc, 0, v8
	s_cbranch_vccnz .LBB3_75
; %bb.74:                               ;   in Loop: Header=BB3_71 Depth=1
	s_add_i32 s22, s33, 1
	v_mov_b32_e32 v8, s22
	global_store_dword v6, v8, s[12:13]
.LBB3_75:                               ;   in Loop: Header=BB3_71 Depth=1
	s_or_b64 exec, exec, s[8:9]
	s_mov_b64 s[8:9], 0
	s_mov_b64 s[22:23], -1
.LBB3_76:                               ;   in Loop: Header=BB3_71 Depth=1
	s_andn2_b64 vcc, exec, s[8:9]
	s_cbranch_vccnz .LBB3_86
; %bb.77:                               ;   in Loop: Header=BB3_71 Depth=1
	v_cmp_gt_f64_e32 vcc, s[20:21], v[0:1]
	v_cndmask_b32_e64 v8, 0, 1, vcc
	v_lshlrev_b32_e32 v8, 8, v8
	v_ldexp_f64 v[0:1], v[0:1], v8
	v_rsq_f64_e32 v[8:9], v[0:1]
	s_and_b64 s[8:9], vcc, exec
	s_cselect_b32 s8, 0xffffff80, 0
	v_cmp_class_f64_e32 vcc, v[0:1], v7
	v_mul_f64 v[10:11], v[0:1], v[8:9]
	v_mul_f64 v[8:9], v[8:9], 0.5
	v_fma_f64 v[12:13], -v[8:9], v[10:11], 0.5
	v_fmac_f64_e32 v[10:11], v[10:11], v[12:13]
	v_fmac_f64_e32 v[8:9], v[8:9], v[12:13]
	v_fma_f64 v[12:13], -v[10:11], v[10:11], v[0:1]
	v_fmac_f64_e32 v[10:11], v[12:13], v[8:9]
	v_fma_f64 v[12:13], -v[10:11], v[10:11], v[0:1]
	v_fmac_f64_e32 v[10:11], v[12:13], v[8:9]
	v_ldexp_f64 v[8:9], v[10:11], s8
	v_cndmask_b32_e32 v1, v9, v1, vcc
	v_cndmask_b32_e32 v0, v8, v0, vcc
	s_and_saveexec_b64 s[8:9], s[4:5]
	s_cbranch_execz .LBB3_79
; %bb.78:                               ;   in Loop: Header=BB3_71 Depth=1
	v_mov_b32_e32 v8, s76
	ds_write_b64 v8, v[0:1]
.LBB3_79:                               ;   in Loop: Header=BB3_71 Depth=1
	s_or_b64 exec, exec, s[8:9]
	s_add_i32 s77, s33, 1
	v_add_u32_e32 v8, s77, v2
	v_cmp_gt_i32_e32 vcc, s37, v8
	s_mov_b64 s[8:9], -1
	s_waitcnt lgkmcnt(0)
	s_barrier
	s_waitcnt lgkmcnt(0)
                                        ; implicit-def: $sgpr24_sgpr25
                                        ; implicit-def: $sgpr30_sgpr31
                                        ; implicit-def: $sgpr46_sgpr47
	s_and_saveexec_b64 s[48:49], vcc
	s_cbranch_execz .LBB3_88
; %bb.80:                               ;   in Loop: Header=BB3_71 Depth=1
	v_add_lshl_u32 v9, v2, s50, 3
	v_add3_u32 v9, 0, 8, v9
	s_mov_b64 s[30:31], 0
	s_mov_b64 s[60:61], 0
                                        ; implicit-def: $sgpr50_sgpr51
                                        ; implicit-def: $sgpr46_sgpr47
                                        ; implicit-def: $sgpr52_sgpr53
                                        ; implicit-def: $sgpr24_sgpr25
                                        ; implicit-def: $sgpr58_sgpr59
                                        ; implicit-def: $sgpr54_sgpr55
                                        ; implicit-def: $sgpr56_sgpr57
                                        ; implicit-def: $sgpr62_sgpr63
	s_branch .LBB3_83
.LBB3_81:                               ;   in Loop: Header=BB3_83 Depth=2
	s_or_b64 exec, exec, s[66:67]
	s_andn2_b64 s[62:63], s[62:63], exec
	s_and_b64 s[66:67], s[68:69], exec
	s_andn2_b64 s[58:59], s[58:59], exec
	s_and_b64 s[8:9], s[8:9], exec
	s_or_b64 s[62:63], s[62:63], s[66:67]
	s_andn2_b64 s[56:57], s[56:57], exec
	s_or_b64 s[54:55], s[54:55], exec
	s_or_b64 s[58:59], s[58:59], s[8:9]
.LBB3_82:                               ;   in Loop: Header=BB3_83 Depth=2
	s_or_b64 exec, exec, s[64:65]
	s_xor_b64 s[8:9], s[62:63], -1
	s_and_b64 s[64:65], exec, s[58:59]
	s_or_b64 s[60:61], s[64:65], s[60:61]
	s_andn2_b64 s[24:25], s[24:25], exec
	s_and_b64 s[64:65], s[56:57], exec
	s_or_b64 s[24:25], s[24:25], s[64:65]
	s_andn2_b64 s[52:53], s[52:53], exec
	s_and_b64 s[64:65], s[54:55], exec
	;; [unrolled: 3-line block ×3, first 2 shown]
	s_andn2_b64 s[50:51], s[50:51], exec
	s_and_b64 s[8:9], s[8:9], exec
	s_or_b64 s[46:47], s[46:47], s[64:65]
	s_or_b64 s[50:51], s[50:51], s[8:9]
	s_andn2_b64 exec, exec, s[60:61]
	s_cbranch_execz .LBB3_87
.LBB3_83:                               ;   Parent Loop BB3_71 Depth=1
                                        ; =>  This Inner Loop Header: Depth=2
	v_cmp_lt_i32_e32 vcc, -1, v8
	s_or_b64 s[62:63], s[62:63], exec
	s_or_b64 s[56:57], s[56:57], exec
	s_andn2_b64 s[54:55], s[54:55], exec
	s_or_b64 s[58:59], s[58:59], exec
	s_and_saveexec_b64 s[64:65], vcc
	s_cbranch_execz .LBB3_82
; %bb.84:                               ;   in Loop: Header=BB3_83 Depth=2
	v_cmp_le_u32_e32 vcc, s33, v8
	s_mov_b64 s[8:9], -1
	s_mov_b64 s[68:69], -1
	s_and_saveexec_b64 s[66:67], vcc
	s_cbranch_execz .LBB3_81
; %bb.85:                               ;   in Loop: Header=BB3_83 Depth=2
	ds_read_b64 v[10:11], v9
	v_add_u32_e32 v8, s70, v8
	s_xor_b64 s[68:69], exec, -1
	s_waitcnt lgkmcnt(0)
	v_div_scale_f64 v[12:13], s[8:9], v[0:1], v[0:1], v[10:11]
	v_rcp_f64_e32 v[14:15], v[12:13]
	v_div_scale_f64 v[16:17], vcc, v[10:11], v[0:1], v[10:11]
	v_cmp_le_i32_e64 s[8:9], s37, v8
	v_fma_f64 v[18:19], -v[12:13], v[14:15], 1.0
	v_fmac_f64_e32 v[14:15], v[14:15], v[18:19]
	v_fma_f64 v[18:19], -v[12:13], v[14:15], 1.0
	v_fmac_f64_e32 v[14:15], v[14:15], v[18:19]
	v_mul_f64 v[18:19], v[16:17], v[14:15]
	v_fma_f64 v[12:13], -v[12:13], v[18:19], v[16:17]
	v_div_fmas_f64 v[12:13], v[12:13], v[14:15], v[18:19]
	v_div_fixup_f64 v[10:11], v[12:13], v[0:1], v[10:11]
	ds_write_b64 v9, v[10:11]
	v_add_u32_e32 v9, s72, v9
	s_orn2_b64 s[8:9], s[8:9], exec
	s_branch .LBB3_81
.LBB3_86:                               ;   in Loop: Header=BB3_71 Depth=1
                                        ; implicit-def: $sgpr24_sgpr25
                                        ; implicit-def: $sgpr30_sgpr31
                                        ; implicit-def: $sgpr46_sgpr47
	s_mov_b64 s[8:9], -1
	s_and_saveexec_b64 s[48:49], s[22:23]
	s_cbranch_execz .LBB3_70
	s_branch .LBB3_104
.LBB3_87:                               ;   in Loop: Header=BB3_71 Depth=1
	s_or_b64 exec, exec, s[60:61]
	s_and_b64 s[46:47], s[46:47], exec
	s_and_b64 s[30:31], s[52:53], exec
	;; [unrolled: 1-line block ×3, first 2 shown]
	s_orn2_b64 s[8:9], s[50:51], exec
.LBB3_88:                               ;   in Loop: Header=BB3_71 Depth=1
	s_or_b64 exec, exec, s[48:49]
	s_and_saveexec_b64 s[48:49], s[8:9]
	s_xor_b64 s[48:49], exec, s[48:49]
	s_cbranch_execz .LBB3_103
; %bb.89:                               ;   in Loop: Header=BB3_71 Depth=1
	v_add_u32_e32 v8, s77, v45
	v_cmp_gt_i32_e32 vcc, s37, v8
	s_mov_b64 s[54:55], -1
	s_waitcnt lgkmcnt(0)
	s_barrier
	s_waitcnt lgkmcnt(0)
                                        ; implicit-def: $sgpr52_sgpr53
                                        ; implicit-def: $sgpr8_sgpr9
	s_and_saveexec_b64 s[50:51], vcc
	s_cbranch_execz .LBB3_100
; %bb.90:                               ;   in Loop: Header=BB3_71 Depth=1
	v_add_u32_e32 v9, s77, v44
	v_cmp_gt_i32_e32 vcc, s37, v9
	s_mov_b64 s[52:53], 0
	v_mov_b32_e32 v10, v3
                                        ; implicit-def: $sgpr54_sgpr55
                                        ; implicit-def: $sgpr58_sgpr59
                                        ; implicit-def: $sgpr56_sgpr57
	s_branch .LBB3_93
.LBB3_91:                               ;   in Loop: Header=BB3_93 Depth=2
	s_or_b64 exec, exec, s[62:63]
	v_add_u32_e32 v8, s36, v8
	v_cmp_le_i32_e64 s[8:9], s37, v8
	s_andn2_b64 s[58:59], s[58:59], exec
	s_and_b64 s[8:9], s[8:9], exec
	v_subrev_u32_e32 v10, s73, v10
	s_andn2_b64 s[56:57], s[56:57], exec
	s_or_b64 s[58:59], s[58:59], s[8:9]
.LBB3_92:                               ;   in Loop: Header=BB3_93 Depth=2
	s_or_b64 exec, exec, s[60:61]
	s_xor_b64 s[8:9], s[56:57], -1
	s_and_b64 s[60:61], exec, s[58:59]
	s_or_b64 s[52:53], s[60:61], s[52:53]
	s_andn2_b64 s[54:55], s[54:55], exec
	s_and_b64 s[8:9], s[8:9], exec
	s_or_b64 s[54:55], s[54:55], s[8:9]
	s_andn2_b64 exec, exec, s[52:53]
	s_cbranch_execz .LBB3_99
.LBB3_93:                               ;   Parent Loop BB3_71 Depth=1
                                        ; =>  This Loop Header: Depth=2
                                        ;       Child Loop BB3_97 Depth 3
	v_cmp_lt_i32_e64 s[8:9], -1, v8
	s_or_b64 s[56:57], s[56:57], exec
	s_or_b64 s[58:59], s[58:59], exec
	s_and_saveexec_b64 s[60:61], s[8:9]
	s_cbranch_execz .LBB3_92
; %bb.94:                               ;   in Loop: Header=BB3_93 Depth=2
	s_and_saveexec_b64 s[62:63], vcc
	s_cbranch_execz .LBB3_91
; %bb.95:                               ;   in Loop: Header=BB3_93 Depth=2
	s_waitcnt lgkmcnt(0)
	v_subrev_u32_e32 v0, s33, v8
	v_lshl_add_u32 v0, v0, 3, s76
	v_sub_u32_e32 v11, s71, v8
	ds_read_b64 v[0:1], v0
	v_mul_lo_u32 v11, v11, v8
	v_lshrrev_b32_e32 v12, 31, v11
	v_add_lshl_u32 v11, v11, v12, 2
	v_and_b32_e32 v11, -8, v11
	v_add_u32_e32 v11, v10, v11
	s_mov_b64 s[64:65], 0
	v_mov_b32_e32 v12, v4
	v_mov_b32_e32 v13, v9
	s_branch .LBB3_97
.LBB3_96:                               ;   in Loop: Header=BB3_97 Depth=3
	s_or_b64 exec, exec, s[66:67]
	v_add_u32_e32 v13, s81, v13
	v_cmp_le_i32_e64 s[8:9], s37, v13
	s_or_b64 s[64:65], s[8:9], s[64:65]
	v_add_u32_e32 v12, s74, v12
	s_andn2_b64 exec, exec, s[64:65]
	s_cbranch_execz .LBB3_91
.LBB3_97:                               ;   Parent Loop BB3_71 Depth=1
                                        ;     Parent Loop BB3_93 Depth=2
                                        ; =>    This Inner Loop Header: Depth=3
	v_cmp_ge_i32_e64 s[8:9], v13, v8
	s_and_saveexec_b64 s[66:67], s[8:9]
	s_cbranch_execz .LBB3_96
; %bb.98:                               ;   in Loop: Header=BB3_97 Depth=3
	v_add_u32_e32 v14, s75, v12
	v_add_u32_e32 v18, v12, v11
	ds_read_b64 v[14:15], v14 offset:8
	ds_read_b64 v[16:17], v18
	s_waitcnt lgkmcnt(0)
	v_fma_f64 v[14:15], -v[0:1], v[14:15], v[16:17]
	ds_write_b64 v18, v[14:15]
	s_branch .LBB3_96
.LBB3_99:                               ;   in Loop: Header=BB3_71 Depth=1
	s_or_b64 exec, exec, s[52:53]
	s_mov_b64 s[8:9], 0
	s_mov_b64 s[52:53], -1
	s_orn2_b64 s[54:55], s[54:55], exec
.LBB3_100:                              ;   in Loop: Header=BB3_71 Depth=1
	s_or_b64 exec, exec, s[50:51]
	s_mov_b64 s[50:51], s[22:23]
	s_and_saveexec_b64 s[56:57], s[54:55]
	s_cbranch_execz .LBB3_102
; %bb.101:                              ;   in Loop: Header=BB3_71 Depth=1
	s_or_b64 s[50:51], s[22:23], exec
	s_waitcnt lgkmcnt(0)
	s_barrier
	s_waitcnt lgkmcnt(0)
                                        ; implicit-def: $sgpr52_sgpr53
                                        ; implicit-def: $sgpr8_sgpr9
.LBB3_102:                              ;   in Loop: Header=BB3_71 Depth=1
	s_or_b64 exec, exec, s[56:57]
	s_andn2_b64 s[30:31], s[30:31], exec
	s_and_b64 s[8:9], s[8:9], exec
	s_andn2_b64 s[24:25], s[24:25], exec
	s_andn2_b64 s[46:47], s[46:47], exec
	s_and_b64 s[52:53], s[52:53], exec
	s_or_b64 s[30:31], s[30:31], s[8:9]
	s_or_b64 s[24:25], s[24:25], s[8:9]
	s_andn2_b64 s[8:9], s[22:23], exec
	s_and_b64 s[22:23], s[50:51], exec
	s_or_b64 s[46:47], s[46:47], s[52:53]
	s_or_b64 s[22:23], s[8:9], s[22:23]
.LBB3_103:                              ;   in Loop: Header=BB3_71 Depth=1
	s_or_b64 exec, exec, s[48:49]
	s_mov_b64 s[8:9], -1
	s_and_saveexec_b64 s[48:49], s[22:23]
	s_cbranch_execz .LBB3_70
.LBB3_104:                              ;   in Loop: Header=BB3_71 Depth=1
	s_add_i32 s33, s33, 1
	s_cmp_eq_u32 s33, s37
	s_cselect_b64 s[8:9], -1, 0
	s_xor_b64 s[6:7], s[6:7], -1
	s_or_b64 s[6:7], s[6:7], s[8:9]
	s_andn2_b64 s[46:47], s[46:47], exec
	s_andn2_b64 s[30:31], s[30:31], exec
	s_andn2_b64 s[24:25], s[24:25], exec
	s_orn2_b64 s[8:9], s[6:7], exec
	s_branch .LBB3_70
.LBB3_105:
	s_or_b64 exec, exec, s[16:17]
	s_mov_b64 s[6:7], 0
	s_mov_b64 s[46:47], -1
	s_mov_b64 s[50:51], 0
	s_mov_b64 s[48:49], 0
	s_and_saveexec_b64 s[4:5], s[18:19]
	s_cbranch_execz .LBB3_109
; %bb.106:
	s_mov_b64 s[12:13], -1
	s_mov_b64 s[8:9], 0
	s_and_saveexec_b64 s[16:17], s[14:15]
	s_xor_b64 s[14:15], exec, s[16:17]
; %bb.107:
	s_mov_b64 s[8:9], exec
	s_xor_b64 s[12:13], exec, -1
	s_and_b64 s[6:7], s[10:11], exec
; %bb.108:
	s_or_b64 exec, exec, s[14:15]
	s_xor_b64 s[46:47], exec, -1
	s_and_b64 s[48:49], s[12:13], exec
	s_and_b64 s[50:51], s[8:9], exec
	;; [unrolled: 1-line block ×3, first 2 shown]
.LBB3_109:
	s_or_b64 exec, exec, s[4:5]
	s_mov_b64 s[54:55], s[34:35]
	s_and_saveexec_b64 s[52:53], s[6:7]
	s_cbranch_execnz .LBB3_111
	s_branch .LBB3_118
.LBB3_110:
	s_mov_b64 s[6:7], -1
	s_mov_b64 s[50:51], 0
	s_mov_b64 s[48:49], 0
	;; [unrolled: 1-line block ×4, first 2 shown]
	s_and_saveexec_b64 s[52:53], s[6:7]
	s_cbranch_execz .LBB3_118
.LBB3_111:
	s_mov_b64 s[4:5], -1
	s_mov_b64 s[54:55], 0
	s_and_b64 vcc, exec, s[44:45]
	s_mov_b64 s[6:7], 0
	s_mov_b64 s[56:57], s[34:35]
	s_waitcnt lgkmcnt(0)
	s_barrier
	s_cbranch_vccnz .LBB3_126
; %bb.112:
	s_and_b64 vcc, exec, s[4:5]
	s_mov_b64 s[44:45], 0
	s_cbranch_vccnz .LBB3_153
.LBB3_113:
	s_and_saveexec_b64 s[4:5], s[6:7]
	s_cbranch_execnz .LBB3_170
.LBB3_114:
	s_or_b64 exec, exec, s[4:5]
	s_and_saveexec_b64 s[4:5], s[54:55]
	s_xor_b64 s[28:29], exec, s[4:5]
	s_cbranch_execnz .LBB3_171
.LBB3_115:
	s_or_b64 exec, exec, s[28:29]
	s_and_saveexec_b64 s[4:5], s[44:45]
	s_xor_b64 s[28:29], exec, s[4:5]
	s_cbranch_execz .LBB3_117
.LBB3_116:
	s_add_u32 s8, s26, 48
	s_addc_u32 s9, s27, 0
	s_getpc_b64 s[4:5]
	s_add_u32 s4, s4, .str.7@rel32@lo+4
	s_addc_u32 s5, s5, .str.7@rel32@hi+12
	s_getpc_b64 s[6:7]
	s_add_u32 s6, s6, __PRETTY_FUNCTION__._ZN9rocsolver6v33100L9idx_lowerIiEET_S2_S2_S2_@rel32@lo+4
	s_addc_u32 s7, s7, __PRETTY_FUNCTION__._ZN9rocsolver6v33100L9idx_lowerIiEET_S2_S2_S2_@rel32@hi+12
	v_mov_b32_e32 v0, s4
	v_mov_b32_e32 v1, s5
	;; [unrolled: 1-line block ×5, first 2 shown]
	s_getpc_b64 s[10:11]
	s_add_u32 s10, s10, __assert_fail@rel32@lo+4
	s_addc_u32 s11, s11, __assert_fail@rel32@hi+12
	s_swappc_b64 s[30:31], s[10:11]
	s_or_b64 s[56:57], s[56:57], exec
.LBB3_117:
	s_or_b64 exec, exec, s[28:29]
	s_andn2_b64 s[4:5], s[34:35], exec
	s_and_b64 s[6:7], s[56:57], exec
	s_or_b64 s[54:55], s[4:5], s[6:7]
	s_andn2_b64 s[50:51], s[50:51], exec
.LBB3_118:
	s_or_b64 exec, exec, s[52:53]
	s_and_saveexec_b64 s[4:5], s[50:51]
	s_xor_b64 s[28:29], exec, s[4:5]
	s_cbranch_execnz .LBB3_124
; %bb.119:
	s_or_b64 exec, exec, s[28:29]
	s_and_saveexec_b64 s[4:5], s[48:49]
	s_xor_b64 s[28:29], exec, s[4:5]
	s_cbranch_execnz .LBB3_125
.LBB3_120:
	s_or_b64 exec, exec, s[28:29]
	s_and_saveexec_b64 s[4:5], s[46:47]
	s_xor_b64 s[28:29], exec, s[4:5]
	s_cbranch_execz .LBB3_122
.LBB3_121:
	s_add_u32 s8, s26, 48
	s_addc_u32 s9, s27, 0
	s_getpc_b64 s[4:5]
	s_add_u32 s4, s4, .str.6@rel32@lo+4
	s_addc_u32 s5, s5, .str.6@rel32@hi+12
	s_getpc_b64 s[6:7]
	s_add_u32 s6, s6, __PRETTY_FUNCTION__._ZN9rocsolver6v33100L9idx_lowerIiEET_S2_S2_S2_@rel32@lo+4
	s_addc_u32 s7, s7, __PRETTY_FUNCTION__._ZN9rocsolver6v33100L9idx_lowerIiEET_S2_S2_S2_@rel32@hi+12
	s_waitcnt lgkmcnt(0)
	v_mov_b32_e32 v0, s4
	v_mov_b32_e32 v1, s5
	;; [unrolled: 1-line block ×5, first 2 shown]
	s_getpc_b64 s[10:11]
	s_add_u32 s10, s10, __assert_fail@rel32@lo+4
	s_addc_u32 s11, s11, __assert_fail@rel32@hi+12
	s_swappc_b64 s[30:31], s[10:11]
	s_or_b64 s[54:55], s[54:55], exec
.LBB3_122:
	s_or_b64 exec, exec, s[28:29]
	s_andn2_b64 s[4:5], s[34:35], exec
	s_and_b64 s[6:7], s[54:55], exec
	s_or_b64 s[34:35], s[4:5], s[6:7]
	s_andn2_b64 s[40:41], s[40:41], exec
	s_or_b64 exec, exec, s[42:43]
	s_and_saveexec_b64 s[4:5], s[40:41]
	s_xor_b64 s[28:29], exec, s[4:5]
	s_cbranch_execz .LBB3_10
.LBB3_123:
	s_add_u32 s8, s26, 48
	s_addc_u32 s9, s27, 0
	s_getpc_b64 s[4:5]
	s_add_u32 s4, s4, .str.8@rel32@lo+4
	s_addc_u32 s5, s5, .str.8@rel32@hi+12
	s_getpc_b64 s[6:7]
	s_add_u32 s6, s6, __PRETTY_FUNCTION__._ZN9rocsolver6v33100L9idx_lowerIiEET_S2_S2_S2_@rel32@lo+4
	s_addc_u32 s7, s7, __PRETTY_FUNCTION__._ZN9rocsolver6v33100L9idx_lowerIiEET_S2_S2_S2_@rel32@hi+12
	s_waitcnt lgkmcnt(0)
	v_mov_b32_e32 v0, s4
	v_mov_b32_e32 v1, s5
	;; [unrolled: 1-line block ×5, first 2 shown]
	s_getpc_b64 s[10:11]
	s_add_u32 s10, s10, __assert_fail@rel32@lo+4
	s_addc_u32 s11, s11, __assert_fail@rel32@hi+12
	s_swappc_b64 s[30:31], s[10:11]
	s_or_b64 s[34:35], s[34:35], exec
	s_or_b64 exec, exec, s[28:29]
	s_and_saveexec_b64 s[4:5], s[38:39]
	s_xor_b64 s[28:29], exec, s[4:5]
	s_cbranch_execnz .LBB3_11
	s_branch .LBB3_12
.LBB3_124:
	s_add_u32 s8, s26, 48
	s_addc_u32 s9, s27, 0
	s_getpc_b64 s[4:5]
	s_add_u32 s4, s4, .str.6@rel32@lo+4
	s_addc_u32 s5, s5, .str.6@rel32@hi+12
	s_getpc_b64 s[6:7]
	s_add_u32 s6, s6, __PRETTY_FUNCTION__._ZN9rocsolver6v33100L9idx_lowerIiEET_S2_S2_S2_@rel32@lo+4
	s_addc_u32 s7, s7, __PRETTY_FUNCTION__._ZN9rocsolver6v33100L9idx_lowerIiEET_S2_S2_S2_@rel32@hi+12
	s_waitcnt lgkmcnt(0)
	v_mov_b32_e32 v0, s4
	v_mov_b32_e32 v1, s5
	;; [unrolled: 1-line block ×5, first 2 shown]
	s_getpc_b64 s[10:11]
	s_add_u32 s10, s10, __assert_fail@rel32@lo+4
	s_addc_u32 s11, s11, __assert_fail@rel32@hi+12
	s_swappc_b64 s[30:31], s[10:11]
	s_or_b64 s[54:55], s[54:55], exec
	s_or_b64 exec, exec, s[28:29]
	s_and_saveexec_b64 s[4:5], s[48:49]
	s_xor_b64 s[28:29], exec, s[4:5]
	s_cbranch_execz .LBB3_120
.LBB3_125:
	s_add_u32 s8, s26, 48
	s_addc_u32 s9, s27, 0
	s_getpc_b64 s[4:5]
	s_add_u32 s4, s4, .str.8@rel32@lo+4
	s_addc_u32 s5, s5, .str.8@rel32@hi+12
	s_getpc_b64 s[6:7]
	s_add_u32 s6, s6, __PRETTY_FUNCTION__._ZN9rocsolver6v33100L9idx_lowerIiEET_S2_S2_S2_@rel32@lo+4
	s_addc_u32 s7, s7, __PRETTY_FUNCTION__._ZN9rocsolver6v33100L9idx_lowerIiEET_S2_S2_S2_@rel32@hi+12
	s_waitcnt lgkmcnt(0)
	v_mov_b32_e32 v0, s4
	v_mov_b32_e32 v1, s5
	;; [unrolled: 1-line block ×5, first 2 shown]
	s_getpc_b64 s[10:11]
	s_add_u32 s10, s10, __assert_fail@rel32@lo+4
	s_addc_u32 s11, s11, __assert_fail@rel32@hi+12
	s_swappc_b64 s[30:31], s[10:11]
	s_or_b64 s[54:55], s[54:55], exec
	s_or_b64 exec, exec, s[28:29]
	s_and_saveexec_b64 s[4:5], s[46:47]
	s_xor_b64 s[28:29], exec, s[4:5]
	s_cbranch_execnz .LBB3_121
	s_branch .LBB3_122
.LBB3_126:
	s_mov_b64 s[6:7], -1
	s_mov_b64 s[56:57], s[34:35]
	s_and_saveexec_b64 s[44:45], s[28:29]
	s_cbranch_execz .LBB3_152
; %bb.127:
	s_lshl_b32 s4, s37, 1
	s_or_b32 s33, s4, 1
	v_lshl_add_u32 v2, v44, 3, 0
	s_lshl_b32 s82, s81, 3
	s_mov_b64 s[12:13], 0
	v_mov_b32_e32 v3, v45
                                        ; implicit-def: $sgpr10_sgpr11
                                        ; implicit-def: $sgpr8_sgpr9
                                        ; implicit-def: $sgpr6_sgpr7
                                        ; implicit-def: $sgpr14_sgpr15
	s_branch .LBB3_129
.LBB3_128:                              ;   in Loop: Header=BB3_129 Depth=1
	s_or_b64 exec, exec, s[22:23]
	s_xor_b64 s[18:19], s[20:21], -1
	s_xor_b64 s[4:5], s[4:5], -1
	s_and_b64 s[16:17], exec, s[16:17]
	s_or_b64 s[12:13], s[16:17], s[12:13]
	s_andn2_b64 s[6:7], s[6:7], exec
	s_and_b64 s[16:17], s[14:15], exec
	s_or_b64 s[6:7], s[6:7], s[16:17]
	s_andn2_b64 s[8:9], s[8:9], exec
	s_and_b64 s[16:17], s[18:19], exec
	s_andn2_b64 s[10:11], s[10:11], exec
	s_and_b64 s[4:5], s[4:5], exec
	s_or_b64 s[8:9], s[8:9], s[16:17]
	s_or_b64 s[10:11], s[10:11], s[4:5]
	s_andn2_b64 exec, exec, s[12:13]
	s_cbranch_execz .LBB3_141
.LBB3_129:                              ; =>This Loop Header: Depth=1
                                        ;     Child Loop BB3_134 Depth 2
	v_add_u32_e32 v0, v3, v44
	v_cmp_gt_i32_e32 vcc, s37, v0
	s_mov_b64 s[18:19], -1
                                        ; implicit-def: $sgpr4_sgpr5
                                        ; implicit-def: $sgpr20_sgpr21
                                        ; implicit-def: $sgpr30_sgpr31
	s_and_saveexec_b64 s[16:17], vcc
	s_cbranch_execz .LBB3_139
; %bb.130:                              ;   in Loop: Header=BB3_129 Depth=1
	v_sub_u32_e32 v1, s33, v3
	v_mul_lo_u32 v1, v1, v3
	v_mad_i64_i32 v[4:5], s[4:5], v3, s80, 0
	v_lshrrev_b32_e32 v6, 31, v1
	v_lshlrev_b64 v[4:5], 3, v[4:5]
	v_add_lshl_u32 v1, v1, v6, 2
	v_add_co_u32_e64 v4, s[4:5], v42, v4
	v_and_b32_e32 v1, -8, v1
	v_cmp_lt_i32_e32 vcc, -1, v3
	v_addc_co_u32_e64 v5, s[4:5], v43, v5, s[4:5]
	v_add_u32_e32 v6, v2, v1
	s_mov_b64 s[20:21], 0
                                        ; implicit-def: $sgpr18_sgpr19
                                        ; implicit-def: $sgpr30_sgpr31
                                        ; implicit-def: $sgpr24_sgpr25
                                        ; implicit-def: $sgpr22_sgpr23
                                        ; implicit-def: $sgpr56_sgpr57
                                        ; implicit-def: $sgpr58_sgpr59
                                        ; implicit-def: $sgpr60_sgpr61
                                        ; implicit-def: $sgpr62_sgpr63
                                        ; implicit-def: $sgpr64_sgpr65
	s_branch .LBB3_134
.LBB3_131:                              ;   in Loop: Header=BB3_134 Depth=2
	s_or_b64 exec, exec, s[72:73]
	s_mov_b64 s[4:5], exec
	s_orn2_b64 s[76:77], s[74:75], exec
	s_xor_b64 s[74:75], exec, -1
	s_orn2_b64 s[72:73], s[78:79], exec
.LBB3_132:                              ;   in Loop: Header=BB3_134 Depth=2
	s_or_b64 exec, exec, s[70:71]
	s_andn2_b64 s[62:63], s[62:63], exec
	s_and_b64 s[68:69], s[68:69], exec
	s_andn2_b64 s[58:59], s[58:59], exec
	s_and_b64 s[4:5], s[4:5], exec
	;; [unrolled: 2-line block ×3, first 2 shown]
	s_or_b64 s[62:63], s[62:63], s[68:69]
	s_andn2_b64 s[60:61], s[60:61], exec
	s_and_b64 s[68:69], s[74:75], exec
	s_or_b64 s[58:59], s[58:59], s[4:5]
	s_andn2_b64 s[4:5], s[56:57], exec
	s_and_b64 s[56:57], s[72:73], exec
	s_or_b64 s[64:65], s[64:65], s[70:71]
	s_or_b64 s[60:61], s[60:61], s[68:69]
	;; [unrolled: 1-line block ×3, first 2 shown]
.LBB3_133:                              ;   in Loop: Header=BB3_134 Depth=2
	s_or_b64 exec, exec, s[66:67]
	s_xor_b64 s[4:5], s[64:65], -1
	s_and_b64 s[66:67], exec, s[56:57]
	s_or_b64 s[20:21], s[66:67], s[20:21]
	s_andn2_b64 s[22:23], s[22:23], exec
	s_and_b64 s[66:67], s[62:63], exec
	s_or_b64 s[22:23], s[22:23], s[66:67]
	s_andn2_b64 s[24:25], s[24:25], exec
	s_and_b64 s[66:67], s[60:61], exec
	s_or_b64 s[24:25], s[24:25], s[66:67]
	s_andn2_b64 s[30:31], s[30:31], exec
	s_and_b64 s[66:67], s[58:59], exec
	s_andn2_b64 s[18:19], s[18:19], exec
	s_and_b64 s[4:5], s[4:5], exec
	s_or_b64 s[30:31], s[30:31], s[66:67]
	s_or_b64 s[18:19], s[18:19], s[4:5]
	s_andn2_b64 exec, exec, s[20:21]
	s_cbranch_execz .LBB3_138
.LBB3_134:                              ;   Parent Loop BB3_129 Depth=1
                                        ; =>  This Inner Loop Header: Depth=2
	v_cmp_lt_i32_e64 s[4:5], -1, v0
	s_or_b64 s[64:65], s[64:65], exec
	s_or_b64 s[62:63], s[62:63], exec
	s_andn2_b64 s[60:61], s[60:61], exec
	s_andn2_b64 s[58:59], s[58:59], exec
	s_or_b64 s[56:57], s[56:57], exec
	s_and_saveexec_b64 s[66:67], s[4:5]
	s_cbranch_execz .LBB3_133
; %bb.135:                              ;   in Loop: Header=BB3_134 Depth=2
	s_mov_b64 s[68:69], 0
	s_mov_b64 s[72:73], -1
	s_mov_b64 s[4:5], 0
	s_mov_b64 s[74:75], -1
	s_mov_b64 s[76:77], -1
	s_and_saveexec_b64 s[70:71], vcc
	s_cbranch_execz .LBB3_132
; %bb.136:                              ;   in Loop: Header=BB3_134 Depth=2
	v_cmp_ge_u32_e64 s[4:5], v0, v3
	s_mov_b64 s[78:79], -1
	s_and_saveexec_b64 s[72:73], s[4:5]
	s_cbranch_execz .LBB3_131
; %bb.137:                              ;   in Loop: Header=BB3_134 Depth=2
	v_ashrrev_i32_e32 v1, 31, v0
	ds_read_b64 v[8:9], v6
	v_lshlrev_b64 v[10:11], 3, v[0:1]
	v_add_co_u32_e64 v10, s[4:5], v4, v10
	v_addc_co_u32_e64 v11, s[4:5], v5, v11, s[4:5]
	v_add_u32_e32 v0, s81, v0
	v_cmp_le_i32_e64 s[4:5], s37, v0
	v_add_u32_e32 v6, s82, v6
	s_xor_b64 s[74:75], exec, -1
	s_orn2_b64 s[78:79], s[4:5], exec
	s_waitcnt lgkmcnt(0)
	flat_store_dwordx2 v[10:11], v[8:9]
	s_branch .LBB3_131
.LBB3_138:                              ;   in Loop: Header=BB3_129 Depth=1
	s_or_b64 exec, exec, s[20:21]
	s_and_b64 s[30:31], s[30:31], exec
	s_and_b64 s[20:21], s[24:25], exec
	;; [unrolled: 1-line block ×3, first 2 shown]
	s_orn2_b64 s[18:19], s[18:19], exec
.LBB3_139:                              ;   in Loop: Header=BB3_129 Depth=1
	s_or_b64 exec, exec, s[16:17]
	s_andn2_b64 s[14:15], s[14:15], exec
	s_and_b64 s[22:23], s[30:31], exec
	s_mov_b64 s[16:17], -1
	s_or_b64 s[14:15], s[14:15], s[22:23]
	s_and_saveexec_b64 s[22:23], s[18:19]
	s_cbranch_execz .LBB3_128
; %bb.140:                              ;   in Loop: Header=BB3_129 Depth=1
	v_add_u32_e32 v3, s36, v3
	v_cmp_le_i32_e32 vcc, s37, v3
	s_andn2_b64 s[14:15], s[14:15], exec
	s_andn2_b64 s[20:21], s[20:21], exec
	;; [unrolled: 1-line block ×3, first 2 shown]
	s_orn2_b64 s[16:17], vcc, exec
	s_branch .LBB3_128
.LBB3_141:
	s_or_b64 exec, exec, s[12:13]
	s_mov_b64 s[58:59], 0
	s_mov_b64 s[62:63], s[34:35]
	s_and_saveexec_b64 s[4:5], s[10:11]
	s_xor_b64 s[56:57], exec, s[4:5]
	s_cbranch_execz .LBB3_149
; %bb.142:
	s_mov_b64 s[60:61], 0
	s_mov_b64 s[62:63], s[34:35]
	s_and_saveexec_b64 s[4:5], s[8:9]
	s_xor_b64 s[58:59], exec, s[4:5]
	s_cbranch_execz .LBB3_146
; %bb.143:
	s_mov_b64 s[4:5], -1
	s_mov_b64 s[8:9], s[34:35]
	s_and_saveexec_b64 s[10:11], s[6:7]
	s_xor_b64 s[60:61], exec, s[10:11]
	s_cbranch_execz .LBB3_145
; %bb.144:
	s_add_u32 s8, s26, 48
	s_addc_u32 s9, s27, 0
	s_getpc_b64 s[4:5]
	s_add_u32 s4, s4, .str.8@rel32@lo+4
	s_addc_u32 s5, s5, .str.8@rel32@hi+12
	s_getpc_b64 s[6:7]
	s_add_u32 s6, s6, __PRETTY_FUNCTION__._ZN9rocsolver6v33100L9idx_lowerIiEET_S2_S2_S2_@rel32@lo+4
	s_addc_u32 s7, s7, __PRETTY_FUNCTION__._ZN9rocsolver6v33100L9idx_lowerIiEET_S2_S2_S2_@rel32@hi+12
	v_mov_b32_e32 v0, s4
	v_mov_b32_e32 v1, s5
	;; [unrolled: 1-line block ×5, first 2 shown]
	s_getpc_b64 s[10:11]
	s_add_u32 s10, s10, __assert_fail@rel32@lo+4
	s_addc_u32 s11, s11, __assert_fail@rel32@hi+12
	s_swappc_b64 s[30:31], s[10:11]
	s_or_b64 s[8:9], s[34:35], exec
	s_xor_b64 s[4:5], exec, -1
.LBB3_145:
	s_or_b64 exec, exec, s[60:61]
	s_andn2_b64 s[6:7], s[34:35], exec
	s_and_b64 s[8:9], s[8:9], exec
	s_or_b64 s[62:63], s[6:7], s[8:9]
	s_and_b64 s[60:61], s[4:5], exec
.LBB3_146:
	s_andn2_saveexec_b64 s[58:59], s[58:59]
	s_cbranch_execz .LBB3_148
; %bb.147:
	s_add_u32 s8, s26, 48
	s_addc_u32 s9, s27, 0
	s_getpc_b64 s[4:5]
	s_add_u32 s4, s4, .str.7@rel32@lo+4
	s_addc_u32 s5, s5, .str.7@rel32@hi+12
	s_getpc_b64 s[6:7]
	s_add_u32 s6, s6, __PRETTY_FUNCTION__._ZN9rocsolver6v33100L9idx_lowerIiEET_S2_S2_S2_@rel32@lo+4
	s_addc_u32 s7, s7, __PRETTY_FUNCTION__._ZN9rocsolver6v33100L9idx_lowerIiEET_S2_S2_S2_@rel32@hi+12
	v_mov_b32_e32 v0, s4
	v_mov_b32_e32 v1, s5
	;; [unrolled: 1-line block ×5, first 2 shown]
	s_getpc_b64 s[10:11]
	s_add_u32 s10, s10, __assert_fail@rel32@lo+4
	s_addc_u32 s11, s11, __assert_fail@rel32@hi+12
	s_swappc_b64 s[30:31], s[10:11]
	s_or_b64 s[62:63], s[62:63], exec
.LBB3_148:
	s_or_b64 exec, exec, s[58:59]
	s_andn2_b64 s[4:5], s[34:35], exec
	s_and_b64 s[6:7], s[62:63], exec
	s_or_b64 s[62:63], s[4:5], s[6:7]
	s_and_b64 s[58:59], s[60:61], exec
.LBB3_149:
	s_andn2_saveexec_b64 s[56:57], s[56:57]
	s_cbranch_execz .LBB3_151
; %bb.150:
	s_add_u32 s8, s26, 48
	s_addc_u32 s9, s27, 0
	s_getpc_b64 s[4:5]
	s_add_u32 s4, s4, .str.6@rel32@lo+4
	s_addc_u32 s5, s5, .str.6@rel32@hi+12
	s_getpc_b64 s[6:7]
	s_add_u32 s6, s6, __PRETTY_FUNCTION__._ZN9rocsolver6v33100L9idx_lowerIiEET_S2_S2_S2_@rel32@lo+4
	s_addc_u32 s7, s7, __PRETTY_FUNCTION__._ZN9rocsolver6v33100L9idx_lowerIiEET_S2_S2_S2_@rel32@hi+12
	v_mov_b32_e32 v0, s4
	v_mov_b32_e32 v1, s5
	;; [unrolled: 1-line block ×5, first 2 shown]
	s_getpc_b64 s[10:11]
	s_add_u32 s10, s10, __assert_fail@rel32@lo+4
	s_addc_u32 s11, s11, __assert_fail@rel32@hi+12
	s_swappc_b64 s[30:31], s[10:11]
	s_or_b64 s[62:63], s[62:63], exec
.LBB3_151:
	s_or_b64 exec, exec, s[56:57]
	s_andn2_b64 s[4:5], s[34:35], exec
	s_and_b64 s[6:7], s[62:63], exec
	s_or_b64 s[56:57], s[4:5], s[6:7]
	s_orn2_b64 s[6:7], s[58:59], exec
.LBB3_152:
	s_or_b64 exec, exec, s[44:45]
	s_mov_b64 s[44:45], 0
	s_branch .LBB3_113
.LBB3_153:
	s_mov_b64 s[6:7], -1
	s_mov_b64 s[54:55], 0
	s_and_saveexec_b64 s[4:5], s[28:29]
	s_cbranch_execz .LBB3_169
; %bb.154:
	s_lshl_b32 s6, s37, 1
	v_sub_u32_e32 v0, s6, v44
	v_add_u32_e32 v2, 1, v0
	v_lshlrev_b32_e32 v0, 3, v45
	v_lshlrev_b32_e32 v1, 3, v44
	v_sub_u32_e32 v0, v0, v1
	s_lshl_b32 s6, s81, 3
	v_add_u32_e32 v3, 0, v0
	s_lshl_b32 s33, s36, 3
	s_sub_i32 s62, 0, s6
	s_mov_b64 s[10:11], 0
                                        ; implicit-def: $sgpr8_sgpr9
                                        ; implicit-def: $sgpr6_sgpr7
	s_branch .LBB3_156
.LBB3_155:                              ;   in Loop: Header=BB3_156 Depth=1
	s_or_b64 exec, exec, s[18:19]
	s_xor_b64 s[14:15], s[20:21], -1
	s_xor_b64 s[16:17], s[16:17], -1
	s_and_b64 s[12:13], exec, s[12:13]
	s_or_b64 s[10:11], s[12:13], s[10:11]
	s_andn2_b64 s[6:7], s[6:7], exec
	s_and_b64 s[12:13], s[14:15], exec
	s_or_b64 s[6:7], s[6:7], s[12:13]
	s_andn2_b64 s[8:9], s[8:9], exec
	s_and_b64 s[12:13], s[16:17], exec
	s_or_b64 s[8:9], s[8:9], s[12:13]
	s_andn2_b64 exec, exec, s[10:11]
	s_cbranch_execz .LBB3_166
.LBB3_156:                              ; =>This Loop Header: Depth=1
                                        ;     Child Loop BB3_160 Depth 2
	v_cmp_le_i32_e32 vcc, v44, v45
	s_mov_b64 s[14:15], -1
                                        ; implicit-def: $sgpr16_sgpr17
                                        ; implicit-def: $sgpr20_sgpr21
	s_and_saveexec_b64 s[12:13], vcc
	s_cbranch_execz .LBB3_164
; %bb.157:                              ;   in Loop: Header=BB3_156 Depth=1
	v_mad_i64_i32 v[0:1], s[14:15], v45, s80, 0
	v_lshlrev_b64 v[0:1], 3, v[0:1]
	v_add_co_u32_e32 v4, vcc, v42, v0
	v_addc_co_u32_e32 v5, vcc, v43, v1, vcc
	s_mov_b64 s[16:17], 0
	v_mov_b32_e32 v6, v3
	v_mov_b32_e32 v7, v2
	v_mov_b32_e32 v0, v44
                                        ; implicit-def: $sgpr14_sgpr15
                                        ; implicit-def: $sgpr20_sgpr21
                                        ; implicit-def: $sgpr18_sgpr19
                                        ; implicit-def: $sgpr28_sgpr29
                                        ; implicit-def: $sgpr22_sgpr23
                                        ; implicit-def: $sgpr24_sgpr25
                                        ; implicit-def: $sgpr30_sgpr31
	s_branch .LBB3_160
.LBB3_158:                              ;   in Loop: Header=BB3_160 Depth=2
	s_or_b64 exec, exec, s[54:55]
	s_andn2_b64 s[30:31], s[30:31], exec
	s_and_b64 s[54:55], s[60:61], exec
	s_or_b64 s[30:31], s[30:31], s[54:55]
	s_andn2_b64 s[28:29], s[28:29], exec
	s_and_b64 s[54:55], s[58:59], exec
	s_andn2_b64 s[24:25], s[24:25], exec
	s_or_b64 s[22:23], s[22:23], exec
	s_or_b64 s[28:29], s[28:29], s[54:55]
.LBB3_159:                              ;   in Loop: Header=BB3_160 Depth=2
	s_or_b64 exec, exec, s[44:45]
	s_xor_b64 s[44:45], s[30:31], -1
	s_and_b64 s[54:55], exec, s[28:29]
	s_or_b64 s[16:17], s[54:55], s[16:17]
	s_andn2_b64 s[18:19], s[18:19], exec
	s_and_b64 s[54:55], s[24:25], exec
	s_or_b64 s[18:19], s[18:19], s[54:55]
	s_andn2_b64 s[20:21], s[20:21], exec
	s_and_b64 s[54:55], s[22:23], exec
	s_andn2_b64 s[14:15], s[14:15], exec
	s_and_b64 s[44:45], s[44:45], exec
	s_or_b64 s[20:21], s[20:21], s[54:55]
	s_or_b64 s[14:15], s[14:15], s[44:45]
	s_andn2_b64 exec, exec, s[16:17]
	s_cbranch_execz .LBB3_163
.LBB3_160:                              ;   Parent Loop BB3_156 Depth=1
                                        ; =>  This Inner Loop Header: Depth=2
	v_cmp_lt_i32_e32 vcc, -1, v0
	s_or_b64 s[30:31], s[30:31], exec
	s_or_b64 s[24:25], s[24:25], exec
	s_andn2_b64 s[22:23], s[22:23], exec
	s_or_b64 s[28:29], s[28:29], exec
	s_and_saveexec_b64 s[44:45], vcc
	s_cbranch_execz .LBB3_159
; %bb.161:                              ;   in Loop: Header=BB3_160 Depth=2
	v_cmp_ge_u32_e32 vcc, v45, v0
	s_mov_b64 s[58:59], -1
	s_mov_b64 s[60:61], -1
	s_and_saveexec_b64 s[54:55], vcc
	s_cbranch_execz .LBB3_158
; %bb.162:                              ;   in Loop: Header=BB3_160 Depth=2
	v_mul_lo_u32 v8, v7, v0
	v_lshrrev_b32_e32 v9, 31, v8
	v_add_lshl_u32 v8, v8, v9, 2
	v_and_b32_e32 v8, -8, v8
	v_ashrrev_i32_e32 v1, 31, v0
	v_add_u32_e32 v8, v6, v8
	ds_read_b64 v[8:9], v8
	v_lshlrev_b64 v[10:11], 3, v[0:1]
	v_add_co_u32_e32 v10, vcc, v4, v10
	v_addc_co_u32_e32 v11, vcc, v5, v11, vcc
	v_add_u32_e32 v0, s81, v0
	v_cmp_gt_i32_e32 vcc, v0, v45
	v_subrev_u32_e32 v7, s81, v7
	v_add_u32_e32 v6, s62, v6
	s_xor_b64 s[60:61], exec, -1
	s_orn2_b64 s[58:59], vcc, exec
	s_waitcnt lgkmcnt(0)
	flat_store_dwordx2 v[10:11], v[8:9]
	s_branch .LBB3_158
.LBB3_163:                              ;   in Loop: Header=BB3_156 Depth=1
	s_or_b64 exec, exec, s[16:17]
	s_and_b64 s[20:21], s[20:21], exec
	s_and_b64 s[16:17], s[18:19], exec
	s_orn2_b64 s[14:15], s[14:15], exec
.LBB3_164:                              ;   in Loop: Header=BB3_156 Depth=1
	s_or_b64 exec, exec, s[12:13]
	s_mov_b64 s[12:13], -1
	s_and_saveexec_b64 s[18:19], s[14:15]
	s_cbranch_execz .LBB3_155
; %bb.165:                              ;   in Loop: Header=BB3_156 Depth=1
	v_add_u32_e32 v45, s36, v45
	v_cmp_le_i32_e32 vcc, s37, v45
	v_add_u32_e32 v3, s33, v3
	s_andn2_b64 s[20:21], s[20:21], exec
	s_andn2_b64 s[16:17], s[16:17], exec
	s_orn2_b64 s[12:13], vcc, exec
	s_branch .LBB3_155
.LBB3_166:
	s_or_b64 exec, exec, s[10:11]
	s_mov_b64 s[10:11], 0
	s_mov_b64 s[14:15], -1
	s_mov_b64 s[12:13], 0
	s_and_saveexec_b64 s[16:17], s[8:9]
	s_xor_b64 s[8:9], exec, s[16:17]
; %bb.167:
	s_mov_b64 s[12:13], exec
	s_xor_b64 s[14:15], exec, -1
	s_and_b64 s[10:11], s[6:7], exec
; %bb.168:
	s_or_b64 exec, exec, s[8:9]
	s_and_b64 s[44:45], s[14:15], exec
	s_and_b64 s[54:55], s[12:13], exec
	s_orn2_b64 s[6:7], s[10:11], exec
.LBB3_169:
	s_or_b64 exec, exec, s[4:5]
	s_and_saveexec_b64 s[4:5], s[6:7]
	s_cbranch_execz .LBB3_114
.LBB3_170:
	s_waitcnt lgkmcnt(0)
	s_barrier
	s_andn2_b64 s[54:55], s[54:55], exec
	s_or_b64 exec, exec, s[4:5]
	s_and_saveexec_b64 s[4:5], s[54:55]
	s_xor_b64 s[28:29], exec, s[4:5]
	s_cbranch_execz .LBB3_115
.LBB3_171:
	s_add_u32 s8, s26, 48
	s_addc_u32 s9, s27, 0
	s_getpc_b64 s[4:5]
	s_add_u32 s4, s4, .str.8@rel32@lo+4
	s_addc_u32 s5, s5, .str.8@rel32@hi+12
	s_getpc_b64 s[6:7]
	s_add_u32 s6, s6, __PRETTY_FUNCTION__._ZN9rocsolver6v33100L9idx_lowerIiEET_S2_S2_S2_@rel32@lo+4
	s_addc_u32 s7, s7, __PRETTY_FUNCTION__._ZN9rocsolver6v33100L9idx_lowerIiEET_S2_S2_S2_@rel32@hi+12
	v_mov_b32_e32 v0, s4
	v_mov_b32_e32 v1, s5
	;; [unrolled: 1-line block ×5, first 2 shown]
	s_getpc_b64 s[10:11]
	s_add_u32 s10, s10, __assert_fail@rel32@lo+4
	s_addc_u32 s11, s11, __assert_fail@rel32@hi+12
	s_swappc_b64 s[30:31], s[10:11]
	s_or_b64 s[56:57], s[56:57], exec
	s_or_b64 exec, exec, s[28:29]
	s_and_saveexec_b64 s[4:5], s[44:45]
	s_xor_b64 s[28:29], exec, s[4:5]
	s_cbranch_execnz .LBB3_116
	s_branch .LBB3_117
	.section	.rodata,"a",@progbits
	.p2align	6, 0x0
	.amdhsa_kernel _ZN9rocsolver6v33100L18potf2_kernel_smallIdiiPKPdEEvbT0_T2_lS5_lPT1_
		.amdhsa_group_segment_fixed_size 0
		.amdhsa_private_segment_fixed_size 64
		.amdhsa_kernarg_size 304
		.amdhsa_user_sgpr_count 8
		.amdhsa_user_sgpr_private_segment_buffer 1
		.amdhsa_user_sgpr_dispatch_ptr 0
		.amdhsa_user_sgpr_queue_ptr 0
		.amdhsa_user_sgpr_kernarg_segment_ptr 1
		.amdhsa_user_sgpr_dispatch_id 0
		.amdhsa_user_sgpr_flat_scratch_init 1
		.amdhsa_user_sgpr_kernarg_preload_length 0
		.amdhsa_user_sgpr_kernarg_preload_offset 0
		.amdhsa_user_sgpr_private_segment_size 0
		.amdhsa_uses_dynamic_stack 0
		.amdhsa_system_sgpr_private_segment_wavefront_offset 1
		.amdhsa_system_sgpr_workgroup_id_x 1
		.amdhsa_system_sgpr_workgroup_id_y 0
		.amdhsa_system_sgpr_workgroup_id_z 1
		.amdhsa_system_sgpr_workgroup_info 0
		.amdhsa_system_vgpr_workitem_id 2
		.amdhsa_next_free_vgpr 51
		.amdhsa_next_free_sgpr 83
		.amdhsa_accum_offset 52
		.amdhsa_reserve_vcc 1
		.amdhsa_reserve_flat_scratch 1
		.amdhsa_float_round_mode_32 0
		.amdhsa_float_round_mode_16_64 0
		.amdhsa_float_denorm_mode_32 3
		.amdhsa_float_denorm_mode_16_64 3
		.amdhsa_dx10_clamp 1
		.amdhsa_ieee_mode 1
		.amdhsa_fp16_overflow 0
		.amdhsa_tg_split 0
		.amdhsa_exception_fp_ieee_invalid_op 0
		.amdhsa_exception_fp_denorm_src 0
		.amdhsa_exception_fp_ieee_div_zero 0
		.amdhsa_exception_fp_ieee_overflow 0
		.amdhsa_exception_fp_ieee_underflow 0
		.amdhsa_exception_fp_ieee_inexact 0
		.amdhsa_exception_int_div_zero 0
	.end_amdhsa_kernel
	.section	.text._ZN9rocsolver6v33100L18potf2_kernel_smallIdiiPKPdEEvbT0_T2_lS5_lPT1_,"axG",@progbits,_ZN9rocsolver6v33100L18potf2_kernel_smallIdiiPKPdEEvbT0_T2_lS5_lPT1_,comdat
.Lfunc_end3:
	.size	_ZN9rocsolver6v33100L18potf2_kernel_smallIdiiPKPdEEvbT0_T2_lS5_lPT1_, .Lfunc_end3-_ZN9rocsolver6v33100L18potf2_kernel_smallIdiiPKPdEEvbT0_T2_lS5_lPT1_
                                        ; -- End function
	.section	.AMDGPU.csdata,"",@progbits
; Kernel info:
; codeLenInByte = 6460
; NumSgprs: 89
; NumVgprs: 51
; NumAgprs: 0
; TotalNumVgprs: 51
; ScratchSize: 64
; MemoryBound: 0
; FloatMode: 240
; IeeeMode: 1
; LDSByteSize: 0 bytes/workgroup (compile time only)
; SGPRBlocks: 11
; VGPRBlocks: 6
; NumSGPRsForWavesPerEU: 89
; NumVGPRsForWavesPerEU: 51
; AccumOffset: 52
; Occupancy: 8
; WaveLimiterHint : 1
; COMPUTE_PGM_RSRC2:SCRATCH_EN: 1
; COMPUTE_PGM_RSRC2:USER_SGPR: 8
; COMPUTE_PGM_RSRC2:TRAP_HANDLER: 0
; COMPUTE_PGM_RSRC2:TGID_X_EN: 1
; COMPUTE_PGM_RSRC2:TGID_Y_EN: 0
; COMPUTE_PGM_RSRC2:TGID_Z_EN: 1
; COMPUTE_PGM_RSRC2:TIDIG_COMP_CNT: 2
; COMPUTE_PGM_RSRC3_GFX90A:ACCUM_OFFSET: 12
; COMPUTE_PGM_RSRC3_GFX90A:TG_SPLIT: 0
	.section	.text._ZN9rocsolver6v33100L18potf2_kernel_smallIdllPdEEvbT0_T2_lS3_lPT1_,"axG",@progbits,_ZN9rocsolver6v33100L18potf2_kernel_smallIdllPdEEvbT0_T2_lS3_lPT1_,comdat
	.globl	_ZN9rocsolver6v33100L18potf2_kernel_smallIdllPdEEvbT0_T2_lS3_lPT1_ ; -- Begin function _ZN9rocsolver6v33100L18potf2_kernel_smallIdllPdEEvbT0_T2_lS3_lPT1_
	.p2align	8
	.type	_ZN9rocsolver6v33100L18potf2_kernel_smallIdllPdEEvbT0_T2_lS3_lPT1_,@function
_ZN9rocsolver6v33100L18potf2_kernel_smallIdllPdEEvbT0_T2_lS3_lPT1_: ; @_ZN9rocsolver6v33100L18potf2_kernel_smallIdllPdEEvbT0_T2_lS3_lPT1_
; %bb.0:
	s_load_dwordx2 s[28:29], s[4:5], 0x44
	s_add_u32 flat_scratch_lo, s6, s10
	s_addc_u32 flat_scratch_hi, s7, 0
	s_add_u32 s0, s0, s10
	s_mov_b64 s[26:27], s[4:5]
	s_waitcnt lgkmcnt(0)
	v_cmp_eq_u16_e64 s[4:5], s29, 1
	s_addc_u32 s1, s1, 0
	s_mov_b32 s50, s9
	v_mov_b32_e32 v41, v0
	s_and_b64 vcc, exec, s[4:5]
	s_mov_b32 s32, 0
	s_cbranch_vccnz .LBB4_2
; %bb.1:
	s_add_u32 s8, s26, 56
	s_addc_u32 s9, s27, 0
	s_getpc_b64 s[4:5]
	s_add_u32 s4, s4, .str@rel32@lo+4
	s_addc_u32 s5, s5, .str@rel32@hi+12
	s_getpc_b64 s[6:7]
	s_add_u32 s6, s6, __PRETTY_FUNCTION__._ZN9rocsolver6v33100L18potf2_kernel_smallIdllPdEEvbT0_T2_lS3_lPT1_@rel32@lo+4
	s_addc_u32 s7, s7, __PRETTY_FUNCTION__._ZN9rocsolver6v33100L18potf2_kernel_smallIdllPdEEvbT0_T2_lS3_lPT1_@rel32@hi+12
	v_mov_b32_e32 v0, s4
	v_mov_b32_e32 v1, s5
	;; [unrolled: 1-line block ×5, first 2 shown]
	s_getpc_b64 s[10:11]
	s_add_u32 s10, s10, __assert_fail@rel32@lo+4
	s_addc_u32 s11, s11, __assert_fail@rel32@hi+12
	s_swappc_b64 s[30:31], s[10:11]
	s_mov_b64 s[34:35], -1
	s_cbranch_execz .LBB4_3
	s_branch .LBB4_125
.LBB4_2:
	s_mov_b64 s[34:35], 0
.LBB4_3:
	s_load_dwordx8 s[36:43], s[26:27], 0x8
	s_waitcnt lgkmcnt(0)
	s_cmp_lg_u64 s[38:39], 0
	s_cbranch_scc0 .LBB4_17
; %bb.4:
	s_load_dwordx4 s[44:47], s[26:27], 0x28
	s_waitcnt lgkmcnt(0)
	s_cmp_lg_u64 s[46:47], 0
	s_cbranch_scc0 .LBB4_18
; %bb.5:
	s_load_dword s6, s[26:27], 0x0
	v_bfe_u32 v44, v41, 10, 10
	v_mov_b32_e32 v45, 0
	s_mov_b64 s[4:5], -1
	v_and_b32_e32 v42, 0x3ff, v41
	s_waitcnt lgkmcnt(0)
	s_bitcmp1_b32 s6, 0
	s_cselect_b64 s[6:7], -1, 0
	s_xor_b64 s[54:55], s[6:7], -1
	s_lshr_b32 s76, s28, 16
	s_and_b32 s77, s28, 0xffff
	s_mov_b32 s51, 0
	v_cmp_gt_i64_e64 s[28:29], s[36:37], v[44:45]
	s_mov_b64 s[48:49], 0
	s_and_b64 vcc, exec, s[54:55]
	s_barrier
	s_cbranch_vccz .LBB4_19
; %bb.6:
	s_mov_b64 s[6:7], -1
	s_and_saveexec_b64 s[52:53], s[28:29]
	s_cbranch_execz .LBB4_23
; %bb.7:
	v_mad_u64_u32 v[2:3], s[8:9], s42, v44, 0
	v_mov_b32_e32 v1, 0
	s_mul_i32 s6, s45, s50
	s_mul_hi_u32 s7, s44, s50
	v_mov_b32_e32 v0, v3
	s_lshl_b64 s[4:5], s[36:37], 1
	s_add_i32 s7, s7, s6
	s_mul_i32 s6, s44, s50
	v_mad_u64_u32 v[4:5], s[8:9], s43, v44, v[0:1]
	s_or_b32 s4, s4, 1
	s_lshl_b64 s[6:7], s[6:7], 3
	s_lshl_b64 s[8:9], s[40:41], 3
	v_mov_b32_e32 v3, v4
	s_add_u32 s6, s8, s6
	v_lshlrev_b64 v[2:3], 3, v[2:3]
	s_addc_u32 s7, s9, s7
	v_mov_b32_e32 v0, s7
	v_add_co_u32_e32 v2, vcc, s6, v2
	v_addc_co_u32_e32 v0, vcc, v0, v3, vcc
	v_add_lshl_u32 v3, v44, v42, 3
	s_lshl_b64 s[6:7], s[42:43], 3
	v_add_co_u32_e32 v2, vcc, v2, v3
	s_add_u32 s6, s6, 8
	v_addc_co_u32_e32 v0, vcc, 0, v0, vcc
	s_addc_u32 s7, s7, 0
	s_mov_b32 s24, 0
	v_mov_b32_e32 v3, s39
	v_add_co_u32_e32 v2, vcc, s38, v2
	s_mul_i32 s7, s7, s76
	s_mul_hi_u32 s8, s6, s76
	s_mov_b32 s25, s24
	v_addc_co_u32_e32 v3, vcc, v3, v0, vcc
	s_add_i32 s30, s8, s7
	s_mul_i32 s31, s6, s76
	s_lshl_b32 s33, s77, 3
	s_mov_b32 s56, s24
	s_mov_b64 s[8:9], 0
	v_pk_mov_b32 v[4:5], v[44:45], v[44:45] op_sel:[0,1]
                                        ; implicit-def: $sgpr6_sgpr7
                                        ; implicit-def: $sgpr10_sgpr11
	s_branch .LBB4_9
.LBB4_8:                                ;   in Loop: Header=BB4_9 Depth=1
	s_or_b64 exec, exec, s[12:13]
	s_and_b64 s[12:13], exec, s[14:15]
	s_or_b64 s[8:9], s[12:13], s[8:9]
	s_andn2_b64 s[6:7], s[6:7], exec
	s_and_b64 s[12:13], s[10:11], exec
	s_or_b64 s[6:7], s[6:7], s[12:13]
	s_andn2_b64 exec, exec, s[8:9]
	s_cbranch_execz .LBB4_20
.LBB4_9:                                ; =>This Loop Header: Depth=1
                                        ;     Child Loop BB4_12 Depth 2
	v_add_co_u32_e32 v6, vcc, v4, v42
	v_addc_co_u32_e32 v7, vcc, 0, v5, vcc
	v_cmp_gt_i64_e32 vcc, s[36:37], v[6:7]
	s_mov_b64 s[16:17], -1
                                        ; implicit-def: $sgpr18_sgpr19
	s_and_saveexec_b64 s[12:13], vcc
	s_cbranch_execz .LBB4_15
; %bb.10:                               ;   in Loop: Header=BB4_9 Depth=1
	v_mov_b32_e32 v0, s5
	v_sub_co_u32_e32 v8, vcc, s4, v4
	v_subb_co_u32_e32 v0, vcc, v0, v5, vcc
	v_mul_lo_u32 v0, v0, v4
	v_mul_lo_u32 v9, v8, v5
	v_mul_hi_u32 v10, v8, v4
	v_add3_u32 v0, v10, v9, v0
	v_lshrrev_b32_e32 v0, 31, v0
	v_mad_u64_u32 v[8:9], s[14:15], v8, v4, v[0:1]
	v_lshrrev_b32_e32 v0, 1, v8
	v_add_u32_e32 v0, v42, v0
	v_lshl_add_u32 v0, v0, 3, 0
	s_mov_b64 s[14:15], 0
	v_pk_mov_b32 v[8:9], v[2:3], v[2:3] op_sel:[0,1]
                                        ; implicit-def: $sgpr16_sgpr17
                                        ; implicit-def: $sgpr20_sgpr21
                                        ; implicit-def: $sgpr18_sgpr19
	s_branch .LBB4_12
.LBB4_11:                               ;   in Loop: Header=BB4_12 Depth=2
	s_or_b64 exec, exec, s[22:23]
	s_xor_b64 s[22:23], s[18:19], -1
	s_and_b64 s[58:59], exec, s[20:21]
	s_or_b64 s[14:15], s[58:59], s[14:15]
	s_andn2_b64 s[16:17], s[16:17], exec
	s_and_b64 s[22:23], s[22:23], exec
	s_or_b64 s[16:17], s[16:17], s[22:23]
	s_andn2_b64 exec, exec, s[14:15]
	s_cbranch_execz .LBB4_14
.LBB4_12:                               ;   Parent Loop BB4_9 Depth=1
                                        ; =>  This Inner Loop Header: Depth=2
	v_cmp_ge_u64_e32 vcc, v[6:7], v[4:5]
	s_or_b64 s[18:19], s[18:19], exec
	s_or_b64 s[20:21], s[20:21], exec
	s_and_saveexec_b64 s[22:23], vcc
	s_cbranch_execz .LBB4_11
; %bb.13:                               ;   in Loop: Header=BB4_12 Depth=2
	global_load_dwordx2 v[10:11], v[8:9], off
	v_mov_b32_e32 v12, s24
	v_add_co_u32_e32 v6, vcc, s77, v6
	v_addc_co_u32_e32 v7, vcc, v7, v12, vcc
	v_mov_b32_e32 v13, s56
	v_add_co_u32_e32 v8, vcc, s33, v8
	v_addc_co_u32_e32 v9, vcc, v9, v13, vcc
	v_cmp_le_i64_e32 vcc, s[36:37], v[6:7]
	s_andn2_b64 s[20:21], s[20:21], exec
	s_and_b64 s[58:59], vcc, exec
	s_andn2_b64 s[18:19], s[18:19], exec
	s_or_b64 s[20:21], s[20:21], s[58:59]
	s_waitcnt vmcnt(0)
	ds_write_b64 v0, v[10:11]
	v_add_u32_e32 v0, s33, v0
	s_branch .LBB4_11
.LBB4_14:                               ;   in Loop: Header=BB4_9 Depth=1
	s_or_b64 exec, exec, s[14:15]
	s_mov_b64 s[18:19], -1
	s_orn2_b64 s[16:17], s[16:17], exec
.LBB4_15:                               ;   in Loop: Header=BB4_9 Depth=1
	s_or_b64 exec, exec, s[12:13]
	s_andn2_b64 s[10:11], s[10:11], exec
	s_and_b64 s[12:13], s[18:19], exec
	s_mov_b64 s[14:15], -1
	s_or_b64 s[10:11], s[10:11], s[12:13]
	s_and_saveexec_b64 s[12:13], s[16:17]
	s_cbranch_execz .LBB4_8
; %bb.16:                               ;   in Loop: Header=BB4_9 Depth=1
	v_mov_b32_e32 v0, s25
	v_add_co_u32_e32 v4, vcc, s76, v4
	v_addc_co_u32_e32 v5, vcc, v5, v0, vcc
	v_mov_b32_e32 v0, s30
	v_add_co_u32_e32 v2, vcc, s31, v2
	v_addc_co_u32_e32 v3, vcc, v3, v0, vcc
	v_cmp_le_i64_e32 vcc, s[36:37], v[4:5]
	s_andn2_b64 s[10:11], s[10:11], exec
	s_orn2_b64 s[14:15], vcc, exec
	s_branch .LBB4_8
.LBB4_17:
	s_cbranch_execnz .LBB4_124
	s_branch .LBB4_125
.LBB4_18:
	s_cbranch_execnz .LBB4_122
	s_branch .LBB4_123
.LBB4_19:
	s_mov_b64 s[6:7], 0
	s_and_b64 vcc, exec, s[4:5]
	s_cbranch_vccnz .LBB4_24
	s_branch .LBB4_37
.LBB4_20:
	s_or_b64 exec, exec, s[8:9]
	s_mov_b64 s[4:5], -1
	s_mov_b64 s[8:9], s[34:35]
	s_and_saveexec_b64 s[10:11], s[6:7]
	s_xor_b64 s[56:57], exec, s[10:11]
	s_cbranch_execz .LBB4_22
; %bb.21:
	s_add_u32 s8, s26, 56
	s_addc_u32 s9, s27, 0
	s_getpc_b64 s[4:5]
	s_add_u32 s4, s4, .str.8@rel32@lo+4
	s_addc_u32 s5, s5, .str.8@rel32@hi+12
	s_getpc_b64 s[6:7]
	s_add_u32 s6, s6, __PRETTY_FUNCTION__._ZN9rocsolver6v33100L9idx_lowerIlEET_S2_S2_S2_@rel32@lo+4
	s_addc_u32 s7, s7, __PRETTY_FUNCTION__._ZN9rocsolver6v33100L9idx_lowerIlEET_S2_S2_S2_@rel32@hi+12
	v_mov_b32_e32 v0, s4
	v_mov_b32_e32 v1, s5
	;; [unrolled: 1-line block ×5, first 2 shown]
	s_getpc_b64 s[10:11]
	s_add_u32 s10, s10, __assert_fail@rel32@lo+4
	s_addc_u32 s11, s11, __assert_fail@rel32@hi+12
	s_swappc_b64 s[30:31], s[10:11]
	s_or_b64 s[8:9], s[34:35], exec
	s_xor_b64 s[4:5], exec, -1
.LBB4_22:
	s_or_b64 exec, exec, s[56:57]
	s_andn2_b64 s[6:7], s[34:35], exec
	s_and_b64 s[8:9], s[8:9], exec
	s_or_b64 s[34:35], s[6:7], s[8:9]
	s_orn2_b64 s[6:7], s[4:5], exec
.LBB4_23:
	s_or_b64 exec, exec, s[52:53]
	s_branch .LBB4_37
.LBB4_24:
	s_mov_b64 s[6:7], -1
	s_mov_b64 s[48:49], 0
	s_and_saveexec_b64 s[4:5], s[28:29]
	s_cbranch_execz .LBB4_36
; %bb.25:
	s_lshl_b64 s[6:7], s[36:37], 1
	v_mov_b32_e32 v0, s7
	v_sub_co_u32_e32 v2, vcc, s6, v42
	v_subbrev_co_u32_e32 v0, vcc, 0, v0, vcc
	v_add_co_u32_e32 v2, vcc, 1, v2
	v_mad_u64_u32 v[4:5], s[8:9], s42, v44, 0
	v_mov_b32_e32 v1, 0
	v_addc_co_u32_e32 v3, vcc, 0, v0, vcc
	s_mul_i32 s6, s45, s50
	s_mul_hi_u32 s7, s44, s50
	v_mov_b32_e32 v0, v5
	s_add_i32 s7, s7, s6
	s_mul_i32 s6, s44, s50
	v_mad_u64_u32 v[6:7], s[8:9], s43, v44, v[0:1]
	s_lshl_b64 s[6:7], s[6:7], 3
	s_lshl_b64 s[8:9], s[40:41], 3
	v_mov_b32_e32 v5, v6
	s_add_u32 s6, s8, s6
	v_lshlrev_b64 v[4:5], 3, v[4:5]
	s_addc_u32 s7, s9, s7
	v_mov_b32_e32 v0, s7
	v_add_co_u32_e32 v4, vcc, s6, v4
	v_addc_co_u32_e32 v0, vcc, v0, v5, vcc
	v_lshlrev_b32_e32 v5, 3, v42
	v_add_co_u32_e32 v4, vcc, v4, v5
	v_addc_co_u32_e32 v0, vcc, 0, v0, vcc
	s_mul_i32 s6, s43, s76
	s_mul_hi_u32 s7, s42, s76
	s_mov_b32 s24, 0
	v_mov_b32_e32 v5, s39
	v_add_co_u32_e32 v4, vcc, s38, v4
	s_add_i32 s7, s7, s6
	s_mul_i32 s6, s42, s76
	v_mov_b32_e32 v43, v1
	s_mov_b32 s25, s24
	v_sub_u32_e32 v14, v44, v42
	v_addc_co_u32_e32 v5, vcc, v5, v0, vcc
	s_lshl_b64 s[6:7], s[6:7], 3
	s_lshl_b32 s30, s77, 3
	s_mov_b32 s31, s24
	s_mov_b64 s[8:9], 0
	v_pk_mov_b32 v[6:7], v[44:45], v[44:45] op_sel:[0,1]
                                        ; implicit-def: $sgpr10_sgpr11
	s_branch .LBB4_27
.LBB4_26:                               ;   in Loop: Header=BB4_27 Depth=1
	s_or_b64 exec, exec, s[12:13]
	s_xor_b64 s[12:13], s[14:15], -1
	s_and_b64 s[14:15], exec, s[16:17]
	s_or_b64 s[8:9], s[14:15], s[8:9]
	s_andn2_b64 s[10:11], s[10:11], exec
	s_and_b64 s[12:13], s[12:13], exec
	s_or_b64 s[10:11], s[10:11], s[12:13]
	s_andn2_b64 exec, exec, s[8:9]
	s_cbranch_execz .LBB4_35
.LBB4_27:                               ; =>This Loop Header: Depth=1
                                        ;     Child Loop BB4_30 Depth 2
	v_cmp_ge_u64_e32 vcc, v[6:7], v[42:43]
	s_mov_b64 s[18:19], -1
                                        ; implicit-def: $sgpr14_sgpr15
	s_and_saveexec_b64 s[12:13], vcc
	s_cbranch_execz .LBB4_33
; %bb.28:                               ;   in Loop: Header=BB4_27 Depth=1
	s_mov_b64 s[14:15], 0
	v_pk_mov_b32 v[8:9], v[4:5], v[4:5] op_sel:[0,1]
	v_mov_b32_e32 v15, v14
	v_pk_mov_b32 v[10:11], v[2:3], v[2:3] op_sel:[0,1]
	v_pk_mov_b32 v[12:13], v[42:43], v[42:43] op_sel:[0,1]
                                        ; implicit-def: $sgpr16_sgpr17
                                        ; implicit-def: $sgpr20_sgpr21
                                        ; implicit-def: $sgpr18_sgpr19
	s_branch .LBB4_30
.LBB4_29:                               ;   in Loop: Header=BB4_30 Depth=2
	s_or_b64 exec, exec, s[22:23]
	s_xor_b64 s[22:23], s[18:19], -1
	s_and_b64 s[48:49], exec, s[20:21]
	s_or_b64 s[14:15], s[48:49], s[14:15]
	s_andn2_b64 s[16:17], s[16:17], exec
	s_and_b64 s[22:23], s[22:23], exec
	s_or_b64 s[16:17], s[16:17], s[22:23]
	s_andn2_b64 exec, exec, s[14:15]
	s_cbranch_execz .LBB4_32
.LBB4_30:                               ;   Parent Loop BB4_27 Depth=1
                                        ; =>  This Inner Loop Header: Depth=2
	v_cmp_gt_i64_e32 vcc, s[36:37], v[12:13]
	s_or_b64 s[18:19], s[18:19], exec
	s_or_b64 s[20:21], s[20:21], exec
	s_and_saveexec_b64 s[22:23], vcc
	s_cbranch_execz .LBB4_29
; %bb.31:                               ;   in Loop: Header=BB4_30 Depth=2
	global_load_dwordx2 v[16:17], v[8:9], off
	v_mul_lo_u32 v0, v11, v12
	v_mul_lo_u32 v18, v10, v13
	v_mul_hi_u32 v19, v10, v12
	v_mov_b32_e32 v21, s31
	v_add3_u32 v0, v19, v18, v0
	v_add_co_u32_e32 v8, vcc, s30, v8
	v_addc_co_u32_e32 v9, vcc, v9, v21, vcc
	v_lshrrev_b32_e32 v0, 31, v0
	v_mov_b32_e32 v20, s24
	v_mad_u64_u32 v[18:19], s[48:49], v10, v12, v[0:1]
	v_add_co_u32_e32 v12, vcc, s77, v12
	v_addc_co_u32_e32 v13, vcc, v13, v20, vcc
	v_subrev_co_u32_e32 v10, vcc, s77, v10
	v_subb_co_u32_e32 v11, vcc, v11, v20, vcc
	v_lshrrev_b32_e32 v0, 1, v18
	v_cmp_gt_u64_e32 vcc, v[12:13], v[6:7]
	s_andn2_b64 s[20:21], s[20:21], exec
	v_add_u32_e32 v0, v15, v0
	s_and_b64 s[48:49], vcc, exec
	s_andn2_b64 s[18:19], s[18:19], exec
	v_subrev_u32_e32 v15, s77, v15
	v_lshl_add_u32 v0, v0, 3, 0
	s_or_b64 s[20:21], s[20:21], s[48:49]
	s_waitcnt vmcnt(0)
	ds_write_b64 v0, v[16:17]
	s_branch .LBB4_29
.LBB4_32:                               ;   in Loop: Header=BB4_27 Depth=1
	s_or_b64 exec, exec, s[14:15]
	s_mov_b64 s[14:15], -1
	s_orn2_b64 s[18:19], s[16:17], exec
.LBB4_33:                               ;   in Loop: Header=BB4_27 Depth=1
	s_or_b64 exec, exec, s[12:13]
	s_mov_b64 s[16:17], -1
	s_and_saveexec_b64 s[12:13], s[18:19]
	s_cbranch_execz .LBB4_26
; %bb.34:                               ;   in Loop: Header=BB4_27 Depth=1
	v_mov_b32_e32 v0, s25
	v_add_co_u32_e32 v6, vcc, s76, v6
	v_addc_co_u32_e32 v7, vcc, v7, v0, vcc
	v_mov_b32_e32 v0, s7
	v_add_co_u32_e32 v4, vcc, s6, v4
	v_addc_co_u32_e32 v5, vcc, v5, v0, vcc
	v_cmp_le_i64_e32 vcc, s[36:37], v[6:7]
	v_add_u32_e32 v14, s76, v14
	s_andn2_b64 s[14:15], s[14:15], exec
	s_orn2_b64 s[16:17], vcc, exec
	s_branch .LBB4_26
.LBB4_35:
	s_or_b64 exec, exec, s[8:9]
	s_mov_b64 s[48:49], exec
	s_orn2_b64 s[6:7], s[10:11], exec
.LBB4_36:
	s_or_b64 exec, exec, s[4:5]
.LBB4_37:
	s_and_saveexec_b64 s[52:53], s[6:7]
	s_cbranch_execz .LBB4_119
; %bb.38:
	v_cmp_gt_i64_e64 s[4:5], s[36:37], 0
	s_mov_b64 s[56:57], 0
	s_and_b64 vcc, exec, s[4:5]
	s_waitcnt lgkmcnt(0)
	s_barrier
	s_cbranch_vccz .LBB4_80
; %bb.39:
	s_lshl_b64 s[4:5], s[50:51], 3
	s_mul_i32 s33, s76, s77
	v_bfe_u32 v1, v41, 20, 10
	s_add_u32 s10, s46, s4
	v_mul_u32_u24_e32 v0, s77, v44
	v_mul_lo_u32 v1, s33, v1
	s_addc_u32 s11, s47, s5
	v_add3_u32 v0, v0, v42, v1
	s_lshl_b64 s[12:13], s[36:37], 1
	s_mov_b32 s51, 0
	s_mov_b32 s20, 0
	s_or_b32 s12, s12, 1
	v_cmp_eq_u32_e64 s[4:5], 0, v0
	v_mov_b32_e32 v3, 0
	s_mov_b32 s78, s51
	s_mov_b32 s79, s51
	s_lshl_b32 s80, s33, 3
	v_sub_u32_e32 v1, v42, v44
	s_lshl_b32 s81, s77, 3
	s_mov_b64 s[16:17], 0
	v_mov_b32_e32 v12, 0x180
	s_brev_b32 s21, 8
	v_mov_b32_e32 v13, 0x260
	s_mov_b64 s[8:9], 0
	s_mov_b64 s[22:23], 0
                                        ; implicit-def: $sgpr18_sgpr19
                                        ; implicit-def: $sgpr14_sgpr15
	s_branch .LBB4_42
.LBB4_40:                               ;   in Loop: Header=BB4_42 Depth=1
	s_andn2_b64 s[46:47], s[46:47], exec
	s_andn2_b64 s[30:31], s[30:31], exec
	s_orn2_b64 s[56:57], s[56:57], exec
.LBB4_41:                               ;   in Loop: Header=BB4_42 Depth=1
	s_or_b64 exec, exec, s[24:25]
	s_xor_b64 s[6:7], s[46:47], -1
	s_xor_b64 s[24:25], s[30:31], -1
	s_and_b64 s[30:31], exec, s[56:57]
	s_or_b64 s[16:17], s[30:31], s[16:17]
	s_andn2_b64 s[14:15], s[14:15], exec
	s_and_b64 s[6:7], s[6:7], exec
	s_or_b64 s[14:15], s[14:15], s[6:7]
	s_andn2_b64 s[6:7], s[18:19], exec
	s_and_b64 s[18:19], s[24:25], exec
	s_or_b64 s[18:19], s[6:7], s[18:19]
	s_andn2_b64 exec, exec, s[16:17]
	s_cbranch_execz .LBB4_75
.LBB4_42:                               ; =>This Loop Header: Depth=1
                                        ;     Child Loop BB4_53 Depth 2
                                        ;     Child Loop BB4_62 Depth 2
                                        ;       Child Loop BB4_66 Depth 3
	s_add_u32 s6, s8, s12
	s_addc_u32 s7, s9, s13
	s_mul_i32 s9, s6, s23
	s_mul_hi_u32 s24, s6, s22
	s_add_i32 s9, s24, s9
	s_mul_i32 s7, s7, s22
	s_add_i32 s9, s9, s7
	s_mul_i32 s6, s6, s22
	s_lshr_b32 s7, s9, 31
	s_add_u32 s6, s6, s7
	s_addc_u32 s7, s9, 0
	s_ashr_i64 s[56:57], s[6:7], 1
	s_lshl_b32 s6, s56, 3
	s_add_i32 s9, s6, 0
	v_mov_b32_e32 v2, s9
	ds_read_b64 v[4:5], v2
	s_mov_b64 s[24:25], 0
	s_mov_b64 s[30:31], -1
	s_waitcnt lgkmcnt(0)
	v_cmp_class_f64_e64 s[6:7], v[4:5], v12
	s_and_b64 vcc, exec, s[6:7]
	s_cbranch_vccnz .LBB4_47
; %bb.43:                               ;   in Loop: Header=BB4_42 Depth=1
	s_and_saveexec_b64 s[24:25], s[4:5]
	s_cbranch_execz .LBB4_46
; %bb.44:                               ;   in Loop: Header=BB4_42 Depth=1
	global_load_dwordx2 v[6:7], v3, s[10:11]
	s_waitcnt vmcnt(0)
	v_cmp_ne_u64_e32 vcc, 0, v[6:7]
	s_cbranch_vccnz .LBB4_46
; %bb.45:                               ;   in Loop: Header=BB4_42 Depth=1
	s_add_u32 s30, s22, 1
	s_addc_u32 s31, s23, 0
	v_pk_mov_b32 v[6:7], s[30:31], s[30:31] op_sel:[0,1]
	global_store_dwordx2 v3, v[6:7], s[10:11]
.LBB4_46:                               ;   in Loop: Header=BB4_42 Depth=1
	s_or_b64 exec, exec, s[24:25]
	s_mov_b64 s[30:31], 0
	s_mov_b64 s[24:25], -1
.LBB4_47:                               ;   in Loop: Header=BB4_42 Depth=1
	s_andn2_b64 vcc, exec, s[30:31]
	s_cbranch_vccnz .LBB4_55
; %bb.48:                               ;   in Loop: Header=BB4_42 Depth=1
	v_cmp_gt_f64_e32 vcc, s[20:21], v[4:5]
	v_cndmask_b32_e64 v2, 0, 1, vcc
	v_lshlrev_b32_e32 v2, 8, v2
	v_ldexp_f64 v[4:5], v[4:5], v2
	v_rsq_f64_e32 v[6:7], v[4:5]
	s_and_b64 s[30:31], vcc, exec
	s_cselect_b32 s30, 0xffffff80, 0
	v_cmp_class_f64_e32 vcc, v[4:5], v13
	v_mul_f64 v[8:9], v[4:5], v[6:7]
	v_mul_f64 v[6:7], v[6:7], 0.5
	v_fma_f64 v[10:11], -v[6:7], v[8:9], 0.5
	v_fmac_f64_e32 v[8:9], v[8:9], v[10:11]
	v_fmac_f64_e32 v[6:7], v[6:7], v[10:11]
	v_fma_f64 v[10:11], -v[8:9], v[8:9], v[4:5]
	v_fmac_f64_e32 v[8:9], v[10:11], v[6:7]
	v_fma_f64 v[10:11], -v[8:9], v[8:9], v[4:5]
	v_fmac_f64_e32 v[8:9], v[10:11], v[6:7]
	v_ldexp_f64 v[6:7], v[8:9], s30
	v_cndmask_b32_e32 v5, v7, v5, vcc
	v_cndmask_b32_e32 v4, v6, v4, vcc
	s_and_saveexec_b64 s[30:31], s[4:5]
	s_cbranch_execz .LBB4_50
; %bb.49:                               ;   in Loop: Header=BB4_42 Depth=1
	v_mov_b32_e32 v2, s9
	ds_write_b64 v2, v[4:5]
.LBB4_50:                               ;   in Loop: Header=BB4_42 Depth=1
	s_or_b64 exec, exec, s[30:31]
	s_add_u32 s9, s22, 1
	s_addc_u32 s57, s23, 0
	v_mov_b32_e32 v2, s57
	v_add_co_u32_e32 v6, vcc, s9, v0
	v_addc_co_u32_e32 v7, vcc, 0, v2, vcc
	v_cmp_gt_i64_e32 vcc, s[36:37], v[6:7]
	s_mov_b64 s[60:61], -1
	s_waitcnt lgkmcnt(0)
	s_barrier
	s_waitcnt lgkmcnt(0)
                                        ; implicit-def: $sgpr46_sgpr47
                                        ; implicit-def: $sgpr30_sgpr31
	s_and_saveexec_b64 s[58:59], vcc
	s_cbranch_execz .LBB4_57
; %bb.51:                               ;   in Loop: Header=BB4_42 Depth=1
	v_add_lshl_u32 v2, v0, s56, 3
	v_add3_u32 v2, 0, 8, v2
	s_mov_b64 s[30:31], 0
                                        ; implicit-def: $sgpr60_sgpr61
                                        ; implicit-def: $sgpr62_sgpr63
                                        ; implicit-def: $sgpr46_sgpr47
	s_branch .LBB4_53
.LBB4_52:                               ;   in Loop: Header=BB4_53 Depth=2
	s_or_b64 exec, exec, s[64:65]
	s_xor_b64 s[64:65], s[46:47], -1
	s_and_b64 s[66:67], exec, s[62:63]
	s_or_b64 s[30:31], s[66:67], s[30:31]
	s_andn2_b64 s[60:61], s[60:61], exec
	s_and_b64 s[64:65], s[64:65], exec
	s_or_b64 s[60:61], s[60:61], s[64:65]
	s_andn2_b64 exec, exec, s[30:31]
	s_cbranch_execz .LBB4_56
.LBB4_53:                               ;   Parent Loop BB4_42 Depth=1
                                        ; =>  This Inner Loop Header: Depth=2
	v_cmp_le_u64_e32 vcc, s[22:23], v[6:7]
	s_or_b64 s[46:47], s[46:47], exec
	s_or_b64 s[62:63], s[62:63], exec
	s_and_saveexec_b64 s[64:65], vcc
	s_cbranch_execz .LBB4_52
; %bb.54:                               ;   in Loop: Header=BB4_53 Depth=2
	ds_read_b64 v[8:9], v2
	v_mov_b32_e32 v20, s51
	s_andn2_b64 s[62:63], s[62:63], exec
	s_andn2_b64 s[46:47], s[46:47], exec
	s_waitcnt lgkmcnt(0)
	v_div_scale_f64 v[10:11], s[66:67], v[4:5], v[4:5], v[8:9]
	v_rcp_f64_e32 v[14:15], v[10:11]
	v_div_scale_f64 v[16:17], vcc, v[8:9], v[4:5], v[8:9]
	v_fma_f64 v[18:19], -v[10:11], v[14:15], 1.0
	v_fmac_f64_e32 v[14:15], v[14:15], v[18:19]
	v_fma_f64 v[18:19], -v[10:11], v[14:15], 1.0
	v_fmac_f64_e32 v[14:15], v[14:15], v[18:19]
	v_mul_f64 v[18:19], v[16:17], v[14:15]
	v_fma_f64 v[10:11], -v[10:11], v[18:19], v[16:17]
	v_div_fmas_f64 v[10:11], v[10:11], v[14:15], v[18:19]
	v_add_co_u32_e32 v6, vcc, s33, v6
	v_addc_co_u32_e32 v7, vcc, v7, v20, vcc
	v_cmp_le_i64_e32 vcc, s[36:37], v[6:7]
	v_div_fixup_f64 v[8:9], v[10:11], v[4:5], v[8:9]
	s_and_b64 s[66:67], vcc, exec
	ds_write_b64 v2, v[8:9]
	v_add_u32_e32 v2, s80, v2
	s_or_b64 s[62:63], s[62:63], s[66:67]
	s_branch .LBB4_52
.LBB4_55:                               ;   in Loop: Header=BB4_42 Depth=1
                                        ; implicit-def: $sgpr30_sgpr31
                                        ; implicit-def: $sgpr46_sgpr47
	s_mov_b64 s[56:57], -1
                                        ; implicit-def: $sgpr8_sgpr9
	s_and_saveexec_b64 s[58:59], s[24:25]
	s_xor_b64 s[24:25], exec, s[58:59]
	s_cbranch_execz .LBB4_41
	s_branch .LBB4_73
.LBB4_56:                               ;   in Loop: Header=BB4_42 Depth=1
	s_or_b64 exec, exec, s[30:31]
	s_mov_b64 s[30:31], -1
	s_mov_b64 s[46:47], 0
	s_orn2_b64 s[60:61], s[60:61], exec
.LBB4_57:                               ;   in Loop: Header=BB4_42 Depth=1
	s_or_b64 exec, exec, s[58:59]
	s_and_saveexec_b64 s[58:59], s[60:61]
	s_xor_b64 s[58:59], exec, s[58:59]
	s_cbranch_execz .LBB4_72
; %bb.58:                               ;   in Loop: Header=BB4_42 Depth=1
	v_mov_b32_e32 v2, s57
	v_add_co_u32_e32 v4, vcc, s9, v44
	v_addc_co_u32_e32 v5, vcc, 0, v2, vcc
	v_cmp_gt_i64_e32 vcc, s[36:37], v[4:5]
	s_mov_b64 s[62:63], -1
	s_waitcnt lgkmcnt(0)
	s_barrier
	s_waitcnt lgkmcnt(0)
                                        ; implicit-def: $sgpr66_sgpr67
                                        ; implicit-def: $sgpr64_sgpr65
	s_and_saveexec_b64 s[60:61], vcc
	s_cbranch_execz .LBB4_69
; %bb.59:                               ;   in Loop: Header=BB4_42 Depth=1
	v_mov_b32_e32 v2, s57
	v_add_co_u32_e32 v6, vcc, s9, v42
	v_addc_co_u32_e32 v7, vcc, 0, v2, vcc
	s_add_u32 s82, s56, s8
	v_cmp_gt_i64_e32 vcc, s[36:37], v[6:7]
	v_add_lshl_u32 v14, v42, s56, 3
	s_mov_b64 s[56:57], 0
	v_mov_b32_e32 v15, v1
                                        ; implicit-def: $sgpr62_sgpr63
                                        ; implicit-def: $sgpr66_sgpr67
                                        ; implicit-def: $sgpr64_sgpr65
	s_branch .LBB4_62
.LBB4_60:                               ;   in Loop: Header=BB4_62 Depth=2
	s_or_b64 exec, exec, s[70:71]
	v_mov_b32_e32 v2, s79
	v_add_co_u32_e64 v4, s[8:9], s76, v4
	v_addc_co_u32_e64 v5, s[8:9], v5, v2, s[8:9]
	v_cmp_le_i64_e64 s[8:9], s[36:37], v[4:5]
	s_andn2_b64 s[66:67], s[66:67], exec
	s_and_b64 s[8:9], s[8:9], exec
	v_subrev_u32_e32 v15, s76, v15
	s_andn2_b64 s[64:65], s[64:65], exec
	s_or_b64 s[66:67], s[66:67], s[8:9]
.LBB4_61:                               ;   in Loop: Header=BB4_62 Depth=2
	s_or_b64 exec, exec, s[68:69]
	s_xor_b64 s[8:9], s[64:65], -1
	s_and_b64 s[68:69], exec, s[66:67]
	s_or_b64 s[56:57], s[68:69], s[56:57]
	s_andn2_b64 s[62:63], s[62:63], exec
	s_and_b64 s[8:9], s[8:9], exec
	s_or_b64 s[62:63], s[62:63], s[8:9]
	s_andn2_b64 exec, exec, s[56:57]
	s_cbranch_execz .LBB4_68
.LBB4_62:                               ;   Parent Loop BB4_42 Depth=1
                                        ; =>  This Loop Header: Depth=2
                                        ;       Child Loop BB4_66 Depth 3
	v_cmp_le_u64_e64 s[8:9], s[22:23], v[4:5]
	s_or_b64 s[64:65], s[64:65], exec
	s_or_b64 s[66:67], s[66:67], exec
	s_and_saveexec_b64 s[68:69], s[8:9]
	s_cbranch_execz .LBB4_61
; %bb.63:                               ;   in Loop: Header=BB4_62 Depth=2
	s_and_saveexec_b64 s[70:71], vcc
	s_cbranch_execz .LBB4_60
; %bb.64:                               ;   in Loop: Header=BB4_62 Depth=2
	v_add_u32_e32 v2, s82, v4
	v_lshl_add_u32 v2, v2, 3, 0
	s_waitcnt lgkmcnt(0)
	ds_read_b64 v[8:9], v2
	v_mov_b32_e32 v2, s13
	v_sub_co_u32_e64 v10, s[8:9], s12, v4
	v_subb_co_u32_e64 v2, s[8:9], v2, v5, s[8:9]
	v_mul_lo_u32 v2, v2, v4
	v_mul_lo_u32 v11, v10, v5
	v_mul_hi_u32 v16, v10, v4
	v_add3_u32 v2, v16, v11, v2
	v_lshrrev_b32_e32 v2, 31, v2
	v_mad_u64_u32 v[10:11], s[8:9], v10, v4, v[2:3]
	v_lshrrev_b32_e32 v2, 1, v10
	s_mov_b32 s83, 0
	v_add_lshl_u32 v2, v15, v2, 3
	s_mov_b64 s[72:73], 0
	v_pk_mov_b32 v[10:11], v[6:7], v[6:7] op_sel:[0,1]
	s_branch .LBB4_66
.LBB4_65:                               ;   in Loop: Header=BB4_66 Depth=3
	s_or_b64 exec, exec, s[74:75]
	v_mov_b32_e32 v16, s78
	v_add_co_u32_e64 v10, s[8:9], s77, v10
	v_addc_co_u32_e64 v11, s[8:9], v11, v16, s[8:9]
	s_add_i32 s83, s83, s81
	v_cmp_le_i64_e64 s[8:9], s[36:37], v[10:11]
	s_or_b64 s[72:73], s[8:9], s[72:73]
	s_andn2_b64 exec, exec, s[72:73]
	s_cbranch_execz .LBB4_60
.LBB4_66:                               ;   Parent Loop BB4_42 Depth=1
                                        ;     Parent Loop BB4_62 Depth=2
                                        ; =>    This Inner Loop Header: Depth=3
	v_cmp_ge_u64_e64 s[8:9], v[10:11], v[4:5]
	s_and_saveexec_b64 s[74:75], s[8:9]
	s_cbranch_execz .LBB4_65
; %bb.67:                               ;   in Loop: Header=BB4_66 Depth=3
	v_add_u32_e32 v16, s83, v14
	v_add_u32_e32 v20, s83, v2
	ds_read_b64 v[16:17], v16 offset:8
	ds_read_b64 v[18:19], v20
	s_waitcnt lgkmcnt(0)
	v_fma_f64 v[16:17], -v[8:9], v[16:17], v[18:19]
	ds_write_b64 v20, v[16:17]
	s_branch .LBB4_65
.LBB4_68:                               ;   in Loop: Header=BB4_42 Depth=1
	s_or_b64 exec, exec, s[56:57]
	s_mov_b64 s[64:65], 0
	s_mov_b64 s[66:67], -1
	s_orn2_b64 s[62:63], s[62:63], exec
.LBB4_69:                               ;   in Loop: Header=BB4_42 Depth=1
	s_or_b64 exec, exec, s[60:61]
	s_mov_b64 s[8:9], s[24:25]
	s_and_saveexec_b64 s[56:57], s[62:63]
	s_cbranch_execz .LBB4_71
; %bb.70:                               ;   in Loop: Header=BB4_42 Depth=1
	s_or_b64 s[8:9], s[24:25], exec
	s_waitcnt lgkmcnt(0)
	s_barrier
	s_waitcnt lgkmcnt(0)
                                        ; implicit-def: $sgpr66_sgpr67
                                        ; implicit-def: $sgpr64_sgpr65
.LBB4_71:                               ;   in Loop: Header=BB4_42 Depth=1
	s_or_b64 exec, exec, s[56:57]
	s_andn2_b64 s[46:47], s[46:47], exec
	s_and_b64 s[56:57], s[66:67], exec
	s_or_b64 s[46:47], s[46:47], s[56:57]
	s_andn2_b64 s[30:31], s[30:31], exec
	s_and_b64 s[56:57], s[64:65], exec
	s_andn2_b64 s[24:25], s[24:25], exec
	s_and_b64 s[8:9], s[8:9], exec
	s_or_b64 s[30:31], s[30:31], s[56:57]
	s_or_b64 s[24:25], s[24:25], s[8:9]
.LBB4_72:                               ;   in Loop: Header=BB4_42 Depth=1
	s_or_b64 exec, exec, s[58:59]
	s_mov_b64 s[56:57], -1
                                        ; implicit-def: $sgpr8_sgpr9
	s_and_saveexec_b64 s[58:59], s[24:25]
	s_xor_b64 s[24:25], exec, s[58:59]
	s_cbranch_execz .LBB4_41
.LBB4_73:                               ;   in Loop: Header=BB4_42 Depth=1
	s_and_b64 vcc, exec, s[6:7]
                                        ; implicit-def: $sgpr8_sgpr9
	s_cbranch_vccz .LBB4_40
; %bb.74:                               ;   in Loop: Header=BB4_42 Depth=1
	s_add_u32 s6, s22, 1
	s_addc_u32 s7, s23, 0
	s_not_b64 s[8:9], s[22:23]
	s_cmp_eq_u64 s[6:7], s[36:37]
	s_cselect_b64 s[56:57], -1, 0
	s_mov_b64 s[22:23], s[6:7]
	s_branch .LBB4_40
.LBB4_75:
	s_or_b64 exec, exec, s[16:17]
	s_mov_b64 s[4:5], 0
	s_mov_b64 s[46:47], -1
	s_mov_b64 s[56:57], 0
	s_and_saveexec_b64 s[6:7], s[18:19]
	s_xor_b64 s[6:7], exec, s[6:7]
; %bb.76:
	s_mov_b64 s[56:57], exec
	s_xor_b64 s[46:47], exec, -1
	s_and_b64 s[4:5], s[14:15], exec
; %bb.77:
	s_or_b64 exec, exec, s[6:7]
	s_mov_b64 s[60:61], s[34:35]
	s_and_saveexec_b64 s[58:59], s[4:5]
	s_cbranch_execnz .LBB4_81
.LBB4_78:
	s_or_b64 exec, exec, s[58:59]
	s_and_saveexec_b64 s[4:5], s[56:57]
	s_xor_b64 s[28:29], exec, s[4:5]
	s_cbranch_execz .LBB4_116
.LBB4_79:
	s_add_u32 s8, s26, 56
	s_addc_u32 s9, s27, 0
	s_getpc_b64 s[4:5]
	s_add_u32 s4, s4, .str.8@rel32@lo+4
	s_addc_u32 s5, s5, .str.8@rel32@hi+12
	s_getpc_b64 s[6:7]
	s_add_u32 s6, s6, __PRETTY_FUNCTION__._ZN9rocsolver6v33100L9idx_lowerIlEET_S2_S2_S2_@rel32@lo+4
	s_addc_u32 s7, s7, __PRETTY_FUNCTION__._ZN9rocsolver6v33100L9idx_lowerIlEET_S2_S2_S2_@rel32@hi+12
	v_mov_b32_e32 v0, s4
	v_mov_b32_e32 v1, s5
	;; [unrolled: 1-line block ×5, first 2 shown]
	s_getpc_b64 s[10:11]
	s_add_u32 s10, s10, __assert_fail@rel32@lo+4
	s_addc_u32 s11, s11, __assert_fail@rel32@hi+12
	s_swappc_b64 s[30:31], s[10:11]
	s_or_b64 s[60:61], s[60:61], exec
	s_or_b64 exec, exec, s[28:29]
	s_and_saveexec_b64 s[4:5], s[46:47]
	s_xor_b64 s[28:29], exec, s[4:5]
	s_cbranch_execnz .LBB4_117
	s_branch .LBB4_118
.LBB4_80:
	s_mov_b64 s[4:5], -1
	s_mov_b64 s[46:47], 0
	s_mov_b64 s[60:61], s[34:35]
	s_and_saveexec_b64 s[58:59], s[4:5]
	s_cbranch_execz .LBB4_78
.LBB4_81:
	s_mov_b64 s[4:5], -1
	s_mov_b64 s[60:61], 0
	s_and_b64 vcc, exec, s[54:55]
	s_mov_b64 s[6:7], 0
	s_mov_b64 s[54:55], s[34:35]
	s_waitcnt lgkmcnt(0)
	s_barrier
	s_cbranch_vccz .LBB4_93
; %bb.82:
	s_mov_b64 s[6:7], -1
	s_mov_b64 s[54:55], s[34:35]
	s_and_saveexec_b64 s[62:63], s[28:29]
	s_cbranch_execz .LBB4_108
; %bb.83:
	v_mad_u64_u32 v[2:3], s[8:9], s42, v44, 0
	v_mov_b32_e32 v1, 0
	s_mul_i32 s6, s45, s50
	s_mul_hi_u32 s7, s44, s50
	v_mov_b32_e32 v0, v3
	s_lshl_b64 s[4:5], s[36:37], 1
	s_add_i32 s7, s7, s6
	s_mul_i32 s6, s44, s50
	v_mad_u64_u32 v[4:5], s[8:9], s43, v44, v[0:1]
	s_or_b32 s4, s4, 1
	s_lshl_b64 s[6:7], s[6:7], 3
	s_lshl_b64 s[8:9], s[40:41], 3
	v_mov_b32_e32 v3, v4
	s_add_u32 s6, s8, s6
	v_lshlrev_b64 v[2:3], 3, v[2:3]
	s_addc_u32 s7, s9, s7
	v_mov_b32_e32 v0, s7
	v_add_co_u32_e32 v2, vcc, s6, v2
	v_addc_co_u32_e32 v0, vcc, v0, v3, vcc
	v_add_lshl_u32 v3, v44, v42, 3
	s_lshl_b64 s[6:7], s[42:43], 3
	v_add_co_u32_e32 v2, vcc, v2, v3
	s_add_u32 s6, s6, 8
	v_addc_co_u32_e32 v0, vcc, 0, v0, vcc
	s_addc_u32 s7, s7, 0
	s_mov_b32 s24, 0
	v_mov_b32_e32 v3, s39
	v_add_co_u32_e32 v2, vcc, s38, v2
	s_mul_i32 s7, s7, s76
	s_mul_hi_u32 s8, s6, s76
	s_mov_b32 s25, s24
	v_addc_co_u32_e32 v3, vcc, v3, v0, vcc
	s_add_i32 s30, s8, s7
	s_mul_i32 s31, s6, s76
	s_lshl_b32 s33, s77, 3
	s_mov_b32 s51, s24
	s_mov_b64 s[8:9], 0
	v_pk_mov_b32 v[4:5], v[44:45], v[44:45] op_sel:[0,1]
                                        ; implicit-def: $sgpr6_sgpr7
                                        ; implicit-def: $sgpr10_sgpr11
	s_branch .LBB4_85
.LBB4_84:                               ;   in Loop: Header=BB4_85 Depth=1
	s_or_b64 exec, exec, s[12:13]
	s_and_b64 s[12:13], exec, s[14:15]
	s_or_b64 s[8:9], s[12:13], s[8:9]
	s_andn2_b64 s[6:7], s[6:7], exec
	s_and_b64 s[12:13], s[10:11], exec
	s_or_b64 s[6:7], s[6:7], s[12:13]
	s_andn2_b64 exec, exec, s[8:9]
	s_cbranch_execz .LBB4_105
.LBB4_85:                               ; =>This Loop Header: Depth=1
                                        ;     Child Loop BB4_88 Depth 2
	v_add_co_u32_e32 v6, vcc, v4, v42
	v_addc_co_u32_e32 v7, vcc, 0, v5, vcc
	v_cmp_gt_i64_e32 vcc, s[36:37], v[6:7]
	s_mov_b64 s[16:17], -1
                                        ; implicit-def: $sgpr18_sgpr19
	s_and_saveexec_b64 s[12:13], vcc
	s_cbranch_execz .LBB4_91
; %bb.86:                               ;   in Loop: Header=BB4_85 Depth=1
	v_mov_b32_e32 v0, s5
	v_sub_co_u32_e32 v8, vcc, s4, v4
	v_subb_co_u32_e32 v0, vcc, v0, v5, vcc
	v_mul_lo_u32 v0, v0, v4
	v_mul_lo_u32 v9, v8, v5
	v_mul_hi_u32 v10, v8, v4
	v_add3_u32 v0, v10, v9, v0
	v_lshrrev_b32_e32 v0, 31, v0
	v_mad_u64_u32 v[8:9], s[14:15], v8, v4, v[0:1]
	v_lshrrev_b32_e32 v0, 1, v8
	v_add_u32_e32 v0, v42, v0
	v_lshl_add_u32 v0, v0, 3, 0
	s_mov_b64 s[14:15], 0
	v_pk_mov_b32 v[8:9], v[2:3], v[2:3] op_sel:[0,1]
                                        ; implicit-def: $sgpr16_sgpr17
                                        ; implicit-def: $sgpr20_sgpr21
                                        ; implicit-def: $sgpr18_sgpr19
	s_branch .LBB4_88
.LBB4_87:                               ;   in Loop: Header=BB4_88 Depth=2
	s_or_b64 exec, exec, s[22:23]
	s_xor_b64 s[22:23], s[18:19], -1
	s_and_b64 s[54:55], exec, s[20:21]
	s_or_b64 s[14:15], s[54:55], s[14:15]
	s_andn2_b64 s[16:17], s[16:17], exec
	s_and_b64 s[22:23], s[22:23], exec
	s_or_b64 s[16:17], s[16:17], s[22:23]
	s_andn2_b64 exec, exec, s[14:15]
	s_cbranch_execz .LBB4_90
.LBB4_88:                               ;   Parent Loop BB4_85 Depth=1
                                        ; =>  This Inner Loop Header: Depth=2
	v_cmp_ge_u64_e32 vcc, v[6:7], v[4:5]
	s_or_b64 s[18:19], s[18:19], exec
	s_or_b64 s[20:21], s[20:21], exec
	s_and_saveexec_b64 s[22:23], vcc
	s_cbranch_execz .LBB4_87
; %bb.89:                               ;   in Loop: Header=BB4_88 Depth=2
	ds_read_b64 v[10:11], v0
	v_mov_b32_e32 v12, s24
	v_add_co_u32_e32 v6, vcc, s77, v6
	v_addc_co_u32_e32 v7, vcc, v7, v12, vcc
	s_waitcnt lgkmcnt(0)
	global_store_dwordx2 v[8:9], v[10:11], off
	v_mov_b32_e32 v10, s51
	v_add_co_u32_e32 v8, vcc, s33, v8
	v_addc_co_u32_e32 v9, vcc, v9, v10, vcc
	v_cmp_le_i64_e32 vcc, s[36:37], v[6:7]
	s_andn2_b64 s[20:21], s[20:21], exec
	s_and_b64 s[54:55], vcc, exec
	v_add_u32_e32 v0, s33, v0
	s_andn2_b64 s[18:19], s[18:19], exec
	s_or_b64 s[20:21], s[20:21], s[54:55]
	s_branch .LBB4_87
.LBB4_90:                               ;   in Loop: Header=BB4_85 Depth=1
	s_or_b64 exec, exec, s[14:15]
	s_mov_b64 s[18:19], -1
	s_orn2_b64 s[16:17], s[16:17], exec
.LBB4_91:                               ;   in Loop: Header=BB4_85 Depth=1
	s_or_b64 exec, exec, s[12:13]
	s_andn2_b64 s[10:11], s[10:11], exec
	s_and_b64 s[12:13], s[18:19], exec
	s_mov_b64 s[14:15], -1
	s_or_b64 s[10:11], s[10:11], s[12:13]
	s_and_saveexec_b64 s[12:13], s[16:17]
	s_cbranch_execz .LBB4_84
; %bb.92:                               ;   in Loop: Header=BB4_85 Depth=1
	v_mov_b32_e32 v0, s25
	v_add_co_u32_e32 v4, vcc, s76, v4
	v_addc_co_u32_e32 v5, vcc, v5, v0, vcc
	v_mov_b32_e32 v0, s30
	v_add_co_u32_e32 v2, vcc, s31, v2
	v_addc_co_u32_e32 v3, vcc, v3, v0, vcc
	v_cmp_le_i64_e32 vcc, s[36:37], v[4:5]
	s_andn2_b64 s[10:11], s[10:11], exec
	s_orn2_b64 s[14:15], vcc, exec
	s_branch .LBB4_84
.LBB4_93:
	s_and_b64 vcc, exec, s[4:5]
	s_cbranch_vccz .LBB4_109
; %bb.94:
	s_mov_b64 s[6:7], -1
	s_mov_b64 s[60:61], 0
	s_and_saveexec_b64 s[4:5], s[28:29]
	s_cbranch_execz .LBB4_112
; %bb.95:
	s_lshl_b64 s[6:7], s[36:37], 1
	v_mov_b32_e32 v0, s7
	v_sub_co_u32_e32 v2, vcc, s6, v42
	v_subbrev_co_u32_e32 v0, vcc, 0, v0, vcc
	v_add_co_u32_e32 v2, vcc, 1, v2
	v_mad_u64_u32 v[4:5], s[8:9], s42, v44, 0
	v_mov_b32_e32 v1, 0
	v_addc_co_u32_e32 v3, vcc, 0, v0, vcc
	s_mul_i32 s6, s45, s50
	s_mul_hi_u32 s7, s44, s50
	v_mov_b32_e32 v0, v5
	s_add_i32 s7, s7, s6
	s_mul_i32 s6, s44, s50
	v_mad_u64_u32 v[6:7], s[8:9], s43, v44, v[0:1]
	s_lshl_b64 s[6:7], s[6:7], 3
	s_lshl_b64 s[8:9], s[40:41], 3
	v_mov_b32_e32 v5, v6
	s_add_u32 s6, s8, s6
	v_lshlrev_b64 v[4:5], 3, v[4:5]
	s_addc_u32 s7, s9, s7
	v_mov_b32_e32 v0, s7
	v_add_co_u32_e32 v4, vcc, s6, v4
	v_addc_co_u32_e32 v0, vcc, v0, v5, vcc
	v_lshlrev_b32_e32 v5, 3, v42
	v_add_co_u32_e32 v4, vcc, v4, v5
	v_addc_co_u32_e32 v0, vcc, 0, v0, vcc
	s_mul_i32 s6, s43, s76
	s_mul_hi_u32 s7, s42, s76
	s_mov_b32 s24, 0
	v_mov_b32_e32 v5, s39
	v_add_co_u32_e32 v4, vcc, s38, v4
	s_add_i32 s7, s7, s6
	s_mul_i32 s6, s42, s76
	v_mov_b32_e32 v43, v1
	s_mov_b32 s25, s24
	v_sub_u32_e32 v12, v44, v42
	v_addc_co_u32_e32 v5, vcc, v5, v0, vcc
	s_lshl_b64 s[6:7], s[6:7], 3
	s_lshl_b32 s28, s77, 3
	s_mov_b32 s29, s24
	s_mov_b64 s[8:9], 0
                                        ; implicit-def: $sgpr10_sgpr11
	s_branch .LBB4_97
.LBB4_96:                               ;   in Loop: Header=BB4_97 Depth=1
	s_or_b64 exec, exec, s[12:13]
	s_xor_b64 s[12:13], s[14:15], -1
	s_and_b64 s[14:15], exec, s[16:17]
	s_or_b64 s[8:9], s[14:15], s[8:9]
	s_andn2_b64 s[10:11], s[10:11], exec
	s_and_b64 s[12:13], s[12:13], exec
	s_or_b64 s[10:11], s[10:11], s[12:13]
	s_andn2_b64 exec, exec, s[8:9]
	s_cbranch_execz .LBB4_111
.LBB4_97:                               ; =>This Loop Header: Depth=1
                                        ;     Child Loop BB4_100 Depth 2
	v_cmp_ge_u64_e32 vcc, v[44:45], v[42:43]
	s_mov_b64 s[18:19], -1
                                        ; implicit-def: $sgpr14_sgpr15
	s_and_saveexec_b64 s[12:13], vcc
	s_cbranch_execz .LBB4_103
; %bb.98:                               ;   in Loop: Header=BB4_97 Depth=1
	s_mov_b64 s[14:15], 0
	v_pk_mov_b32 v[6:7], v[4:5], v[4:5] op_sel:[0,1]
	v_mov_b32_e32 v13, v12
	v_pk_mov_b32 v[8:9], v[2:3], v[2:3] op_sel:[0,1]
	v_pk_mov_b32 v[10:11], v[42:43], v[42:43] op_sel:[0,1]
                                        ; implicit-def: $sgpr16_sgpr17
                                        ; implicit-def: $sgpr20_sgpr21
                                        ; implicit-def: $sgpr18_sgpr19
	s_branch .LBB4_100
.LBB4_99:                               ;   in Loop: Header=BB4_100 Depth=2
	s_or_b64 exec, exec, s[22:23]
	s_xor_b64 s[22:23], s[18:19], -1
	s_and_b64 s[30:31], exec, s[20:21]
	s_or_b64 s[14:15], s[30:31], s[14:15]
	s_andn2_b64 s[16:17], s[16:17], exec
	s_and_b64 s[22:23], s[22:23], exec
	s_or_b64 s[16:17], s[16:17], s[22:23]
	s_andn2_b64 exec, exec, s[14:15]
	s_cbranch_execz .LBB4_102
.LBB4_100:                              ;   Parent Loop BB4_97 Depth=1
                                        ; =>  This Inner Loop Header: Depth=2
	v_cmp_gt_i64_e32 vcc, s[36:37], v[10:11]
	s_or_b64 s[18:19], s[18:19], exec
	s_or_b64 s[20:21], s[20:21], exec
	s_and_saveexec_b64 s[22:23], vcc
	s_cbranch_execz .LBB4_99
; %bb.101:                              ;   in Loop: Header=BB4_100 Depth=2
	v_mul_lo_u32 v0, v9, v10
	v_mul_lo_u32 v14, v8, v11
	v_mul_hi_u32 v15, v8, v10
	v_add3_u32 v0, v15, v14, v0
	v_lshrrev_b32_e32 v0, 31, v0
	v_mad_u64_u32 v[14:15], s[30:31], v8, v10, v[0:1]
	v_lshrrev_b32_e32 v0, 1, v14
	v_add_u32_e32 v0, v13, v0
	v_lshl_add_u32 v0, v0, 3, 0
	ds_read_b64 v[14:15], v0
	v_mov_b32_e32 v0, s24
	v_add_co_u32_e32 v10, vcc, s77, v10
	v_addc_co_u32_e32 v11, vcc, v11, v0, vcc
	v_subrev_co_u32_e32 v8, vcc, s77, v8
	v_subb_co_u32_e32 v9, vcc, v9, v0, vcc
	s_waitcnt lgkmcnt(0)
	global_store_dwordx2 v[6:7], v[14:15], off
	v_mov_b32_e32 v0, s29
	v_add_co_u32_e32 v6, vcc, s28, v6
	v_addc_co_u32_e32 v7, vcc, v7, v0, vcc
	v_cmp_gt_u64_e32 vcc, v[10:11], v[44:45]
	s_andn2_b64 s[20:21], s[20:21], exec
	s_and_b64 s[30:31], vcc, exec
	v_subrev_u32_e32 v13, s77, v13
	s_andn2_b64 s[18:19], s[18:19], exec
	s_or_b64 s[20:21], s[20:21], s[30:31]
	s_branch .LBB4_99
.LBB4_102:                              ;   in Loop: Header=BB4_97 Depth=1
	s_or_b64 exec, exec, s[14:15]
	s_mov_b64 s[14:15], -1
	s_orn2_b64 s[18:19], s[16:17], exec
.LBB4_103:                              ;   in Loop: Header=BB4_97 Depth=1
	s_or_b64 exec, exec, s[12:13]
	s_mov_b64 s[16:17], -1
	s_and_saveexec_b64 s[12:13], s[18:19]
	s_cbranch_execz .LBB4_96
; %bb.104:                              ;   in Loop: Header=BB4_97 Depth=1
	v_mov_b32_e32 v0, s25
	v_add_co_u32_e32 v44, vcc, s76, v44
	v_addc_co_u32_e32 v45, vcc, v45, v0, vcc
	v_mov_b32_e32 v0, s7
	v_add_co_u32_e32 v4, vcc, s6, v4
	v_addc_co_u32_e32 v5, vcc, v5, v0, vcc
	v_cmp_le_i64_e32 vcc, s[36:37], v[44:45]
	v_add_u32_e32 v12, s76, v12
	s_andn2_b64 s[14:15], s[14:15], exec
	s_orn2_b64 s[16:17], vcc, exec
	s_branch .LBB4_96
.LBB4_105:
	s_or_b64 exec, exec, s[8:9]
	s_mov_b64 s[4:5], -1
	s_mov_b64 s[8:9], s[34:35]
	s_and_saveexec_b64 s[10:11], s[6:7]
	s_xor_b64 s[54:55], exec, s[10:11]
	s_cbranch_execz .LBB4_107
; %bb.106:
	s_add_u32 s8, s26, 56
	s_addc_u32 s9, s27, 0
	s_getpc_b64 s[4:5]
	s_add_u32 s4, s4, .str.8@rel32@lo+4
	s_addc_u32 s5, s5, .str.8@rel32@hi+12
	s_getpc_b64 s[6:7]
	s_add_u32 s6, s6, __PRETTY_FUNCTION__._ZN9rocsolver6v33100L9idx_lowerIlEET_S2_S2_S2_@rel32@lo+4
	s_addc_u32 s7, s7, __PRETTY_FUNCTION__._ZN9rocsolver6v33100L9idx_lowerIlEET_S2_S2_S2_@rel32@hi+12
	v_mov_b32_e32 v0, s4
	v_mov_b32_e32 v1, s5
	v_mov_b32_e32 v2, 0x51
	v_mov_b32_e32 v3, s6
	v_mov_b32_e32 v4, s7
	s_getpc_b64 s[10:11]
	s_add_u32 s10, s10, __assert_fail@rel32@lo+4
	s_addc_u32 s11, s11, __assert_fail@rel32@hi+12
	s_swappc_b64 s[30:31], s[10:11]
	s_or_b64 s[8:9], s[34:35], exec
	s_xor_b64 s[4:5], exec, -1
.LBB4_107:
	s_or_b64 exec, exec, s[54:55]
	s_andn2_b64 s[6:7], s[34:35], exec
	s_and_b64 s[8:9], s[8:9], exec
	s_or_b64 s[54:55], s[6:7], s[8:9]
	s_orn2_b64 s[6:7], s[4:5], exec
.LBB4_108:
	s_or_b64 exec, exec, s[62:63]
.LBB4_109:
	s_and_saveexec_b64 s[4:5], s[6:7]
	s_cbranch_execz .LBB4_113
.LBB4_110:
	s_barrier
	s_andn2_b64 s[60:61], s[60:61], exec
	s_or_b64 exec, exec, s[4:5]
	s_and_saveexec_b64 s[4:5], s[60:61]
	s_xor_b64 s[28:29], exec, s[4:5]
	s_cbranch_execnz .LBB4_114
	s_branch .LBB4_115
.LBB4_111:
	s_or_b64 exec, exec, s[8:9]
	s_mov_b64 s[60:61], exec
	s_orn2_b64 s[6:7], s[10:11], exec
.LBB4_112:
	s_or_b64 exec, exec, s[4:5]
	s_and_saveexec_b64 s[4:5], s[6:7]
	s_cbranch_execnz .LBB4_110
.LBB4_113:
	s_or_b64 exec, exec, s[4:5]
	s_and_saveexec_b64 s[4:5], s[60:61]
	s_xor_b64 s[28:29], exec, s[4:5]
	s_cbranch_execz .LBB4_115
.LBB4_114:
	s_add_u32 s8, s26, 56
	s_addc_u32 s9, s27, 0
	s_getpc_b64 s[4:5]
	s_add_u32 s4, s4, .str.7@rel32@lo+4
	s_addc_u32 s5, s5, .str.7@rel32@hi+12
	s_getpc_b64 s[6:7]
	s_add_u32 s6, s6, __PRETTY_FUNCTION__._ZN9rocsolver6v33100L9idx_lowerIlEET_S2_S2_S2_@rel32@lo+4
	s_addc_u32 s7, s7, __PRETTY_FUNCTION__._ZN9rocsolver6v33100L9idx_lowerIlEET_S2_S2_S2_@rel32@hi+12
	v_mov_b32_e32 v0, s4
	v_mov_b32_e32 v1, s5
	;; [unrolled: 1-line block ×5, first 2 shown]
	s_getpc_b64 s[10:11]
	s_add_u32 s10, s10, __assert_fail@rel32@lo+4
	s_addc_u32 s11, s11, __assert_fail@rel32@hi+12
	s_swappc_b64 s[30:31], s[10:11]
	s_or_b64 s[54:55], s[54:55], exec
.LBB4_115:
	s_or_b64 exec, exec, s[28:29]
	s_andn2_b64 s[4:5], s[34:35], exec
	s_and_b64 s[6:7], s[54:55], exec
	s_or_b64 s[60:61], s[4:5], s[6:7]
	s_andn2_b64 s[56:57], s[56:57], exec
	s_or_b64 exec, exec, s[58:59]
	s_and_saveexec_b64 s[4:5], s[56:57]
	s_xor_b64 s[28:29], exec, s[4:5]
	s_cbranch_execnz .LBB4_79
.LBB4_116:
	s_or_b64 exec, exec, s[28:29]
	s_and_saveexec_b64 s[4:5], s[46:47]
	s_xor_b64 s[28:29], exec, s[4:5]
	s_cbranch_execz .LBB4_118
.LBB4_117:
	s_add_u32 s8, s26, 56
	s_addc_u32 s9, s27, 0
	s_getpc_b64 s[4:5]
	s_add_u32 s4, s4, .str.8@rel32@lo+4
	s_addc_u32 s5, s5, .str.8@rel32@hi+12
	s_getpc_b64 s[6:7]
	s_add_u32 s6, s6, __PRETTY_FUNCTION__._ZN9rocsolver6v33100L9idx_lowerIlEET_S2_S2_S2_@rel32@lo+4
	s_addc_u32 s7, s7, __PRETTY_FUNCTION__._ZN9rocsolver6v33100L9idx_lowerIlEET_S2_S2_S2_@rel32@hi+12
	v_mov_b32_e32 v0, s4
	v_mov_b32_e32 v1, s5
	;; [unrolled: 1-line block ×5, first 2 shown]
	s_getpc_b64 s[10:11]
	s_add_u32 s10, s10, __assert_fail@rel32@lo+4
	s_addc_u32 s11, s11, __assert_fail@rel32@hi+12
	s_swappc_b64 s[30:31], s[10:11]
	s_or_b64 s[60:61], s[60:61], exec
.LBB4_118:
	s_or_b64 exec, exec, s[28:29]
	s_andn2_b64 s[4:5], s[34:35], exec
	s_and_b64 s[6:7], s[60:61], exec
	s_or_b64 s[34:35], s[4:5], s[6:7]
	s_andn2_b64 s[48:49], s[48:49], exec
.LBB4_119:
	s_or_b64 exec, exec, s[52:53]
	s_and_saveexec_b64 s[4:5], s[48:49]
	s_xor_b64 s[28:29], exec, s[4:5]
	s_cbranch_execz .LBB4_121
; %bb.120:
	s_add_u32 s8, s26, 56
	s_addc_u32 s9, s27, 0
	s_getpc_b64 s[4:5]
	s_add_u32 s4, s4, .str.7@rel32@lo+4
	s_addc_u32 s5, s5, .str.7@rel32@hi+12
	s_getpc_b64 s[6:7]
	s_add_u32 s6, s6, __PRETTY_FUNCTION__._ZN9rocsolver6v33100L9idx_lowerIlEET_S2_S2_S2_@rel32@lo+4
	s_addc_u32 s7, s7, __PRETTY_FUNCTION__._ZN9rocsolver6v33100L9idx_lowerIlEET_S2_S2_S2_@rel32@hi+12
	v_mov_b32_e32 v0, s4
	v_mov_b32_e32 v1, s5
	;; [unrolled: 1-line block ×5, first 2 shown]
	s_getpc_b64 s[10:11]
	s_add_u32 s10, s10, __assert_fail@rel32@lo+4
	s_addc_u32 s11, s11, __assert_fail@rel32@hi+12
	s_swappc_b64 s[30:31], s[10:11]
	s_or_b64 s[34:35], s[34:35], exec
.LBB4_121:
	s_or_b64 exec, exec, s[28:29]
	s_branch .LBB4_123
.LBB4_122:
	s_add_u32 s8, s26, 56
	s_addc_u32 s9, s27, 0
	s_getpc_b64 s[4:5]
	s_add_u32 s4, s4, .str.3@rel32@lo+4
	s_addc_u32 s5, s5, .str.3@rel32@hi+12
	s_getpc_b64 s[6:7]
	s_add_u32 s6, s6, __PRETTY_FUNCTION__._ZN9rocsolver6v33100L18potf2_kernel_smallIdllPdEEvbT0_T2_lS3_lPT1_@rel32@lo+4
	s_addc_u32 s7, s7, __PRETTY_FUNCTION__._ZN9rocsolver6v33100L18potf2_kernel_smallIdllPdEEvbT0_T2_lS3_lPT1_@rel32@hi+12
	v_mov_b32_e32 v0, s4
	v_mov_b32_e32 v1, s5
	;; [unrolled: 1-line block ×5, first 2 shown]
	s_getpc_b64 s[10:11]
	s_add_u32 s10, s10, __assert_fail@rel32@lo+4
	s_addc_u32 s11, s11, __assert_fail@rel32@hi+12
	s_swappc_b64 s[30:31], s[10:11]
	s_or_b64 s[34:35], s[34:35], exec
.LBB4_123:
	s_branch .LBB4_125
.LBB4_124:
	s_add_u32 s8, s26, 56
	s_addc_u32 s9, s27, 0
	s_getpc_b64 s[4:5]
	s_add_u32 s4, s4, .str.2@rel32@lo+4
	s_addc_u32 s5, s5, .str.2@rel32@hi+12
	s_getpc_b64 s[6:7]
	s_add_u32 s6, s6, __PRETTY_FUNCTION__._ZN9rocsolver6v33100L18potf2_kernel_smallIdllPdEEvbT0_T2_lS3_lPT1_@rel32@lo+4
	s_addc_u32 s7, s7, __PRETTY_FUNCTION__._ZN9rocsolver6v33100L18potf2_kernel_smallIdllPdEEvbT0_T2_lS3_lPT1_@rel32@hi+12
	v_mov_b32_e32 v0, s4
	v_mov_b32_e32 v1, s5
	;; [unrolled: 1-line block ×5, first 2 shown]
	s_getpc_b64 s[10:11]
	s_add_u32 s10, s10, __assert_fail@rel32@lo+4
	s_addc_u32 s11, s11, __assert_fail@rel32@hi+12
	s_swappc_b64 s[30:31], s[10:11]
	s_or_b64 s[34:35], s[34:35], exec
.LBB4_125:
	s_and_saveexec_b64 s[4:5], s[34:35]
; %bb.126:
	; divergent unreachable
; %bb.127:
	s_endpgm
	.section	.rodata,"a",@progbits
	.p2align	6, 0x0
	.amdhsa_kernel _ZN9rocsolver6v33100L18potf2_kernel_smallIdllPdEEvbT0_T2_lS3_lPT1_
		.amdhsa_group_segment_fixed_size 0
		.amdhsa_private_segment_fixed_size 64
		.amdhsa_kernarg_size 312
		.amdhsa_user_sgpr_count 8
		.amdhsa_user_sgpr_private_segment_buffer 1
		.amdhsa_user_sgpr_dispatch_ptr 0
		.amdhsa_user_sgpr_queue_ptr 0
		.amdhsa_user_sgpr_kernarg_segment_ptr 1
		.amdhsa_user_sgpr_dispatch_id 0
		.amdhsa_user_sgpr_flat_scratch_init 1
		.amdhsa_user_sgpr_kernarg_preload_length 0
		.amdhsa_user_sgpr_kernarg_preload_offset 0
		.amdhsa_user_sgpr_private_segment_size 0
		.amdhsa_uses_dynamic_stack 0
		.amdhsa_system_sgpr_private_segment_wavefront_offset 1
		.amdhsa_system_sgpr_workgroup_id_x 1
		.amdhsa_system_sgpr_workgroup_id_y 0
		.amdhsa_system_sgpr_workgroup_id_z 1
		.amdhsa_system_sgpr_workgroup_info 0
		.amdhsa_system_vgpr_workitem_id 2
		.amdhsa_next_free_vgpr 51
		.amdhsa_next_free_sgpr 84
		.amdhsa_accum_offset 52
		.amdhsa_reserve_vcc 1
		.amdhsa_reserve_flat_scratch 1
		.amdhsa_float_round_mode_32 0
		.amdhsa_float_round_mode_16_64 0
		.amdhsa_float_denorm_mode_32 3
		.amdhsa_float_denorm_mode_16_64 3
		.amdhsa_dx10_clamp 1
		.amdhsa_ieee_mode 1
		.amdhsa_fp16_overflow 0
		.amdhsa_tg_split 0
		.amdhsa_exception_fp_ieee_invalid_op 0
		.amdhsa_exception_fp_denorm_src 0
		.amdhsa_exception_fp_ieee_div_zero 0
		.amdhsa_exception_fp_ieee_overflow 0
		.amdhsa_exception_fp_ieee_underflow 0
		.amdhsa_exception_fp_ieee_inexact 0
		.amdhsa_exception_int_div_zero 0
	.end_amdhsa_kernel
	.section	.text._ZN9rocsolver6v33100L18potf2_kernel_smallIdllPdEEvbT0_T2_lS3_lPT1_,"axG",@progbits,_ZN9rocsolver6v33100L18potf2_kernel_smallIdllPdEEvbT0_T2_lS3_lPT1_,comdat
.Lfunc_end4:
	.size	_ZN9rocsolver6v33100L18potf2_kernel_smallIdllPdEEvbT0_T2_lS3_lPT1_, .Lfunc_end4-_ZN9rocsolver6v33100L18potf2_kernel_smallIdllPdEEvbT0_T2_lS3_lPT1_
                                        ; -- End function
	.section	.AMDGPU.csdata,"",@progbits
; Kernel info:
; codeLenInByte = 5212
; NumSgprs: 90
; NumVgprs: 51
; NumAgprs: 0
; TotalNumVgprs: 51
; ScratchSize: 64
; MemoryBound: 1
; FloatMode: 240
; IeeeMode: 1
; LDSByteSize: 0 bytes/workgroup (compile time only)
; SGPRBlocks: 11
; VGPRBlocks: 6
; NumSGPRsForWavesPerEU: 90
; NumVGPRsForWavesPerEU: 51
; AccumOffset: 52
; Occupancy: 8
; WaveLimiterHint : 1
; COMPUTE_PGM_RSRC2:SCRATCH_EN: 1
; COMPUTE_PGM_RSRC2:USER_SGPR: 8
; COMPUTE_PGM_RSRC2:TRAP_HANDLER: 0
; COMPUTE_PGM_RSRC2:TGID_X_EN: 1
; COMPUTE_PGM_RSRC2:TGID_Y_EN: 0
; COMPUTE_PGM_RSRC2:TGID_Z_EN: 1
; COMPUTE_PGM_RSRC2:TIDIG_COMP_CNT: 2
; COMPUTE_PGM_RSRC3_GFX90A:ACCUM_OFFSET: 12
; COMPUTE_PGM_RSRC3_GFX90A:TG_SPLIT: 0
	.section	.text._ZN9rocsolver6v33100L18potf2_kernel_smallIdllPKPdEEvbT0_T2_lS5_lPT1_,"axG",@progbits,_ZN9rocsolver6v33100L18potf2_kernel_smallIdllPKPdEEvbT0_T2_lS5_lPT1_,comdat
	.globl	_ZN9rocsolver6v33100L18potf2_kernel_smallIdllPKPdEEvbT0_T2_lS5_lPT1_ ; -- Begin function _ZN9rocsolver6v33100L18potf2_kernel_smallIdllPKPdEEvbT0_T2_lS5_lPT1_
	.p2align	8
	.type	_ZN9rocsolver6v33100L18potf2_kernel_smallIdllPKPdEEvbT0_T2_lS5_lPT1_,@function
_ZN9rocsolver6v33100L18potf2_kernel_smallIdllPKPdEEvbT0_T2_lS5_lPT1_: ; @_ZN9rocsolver6v33100L18potf2_kernel_smallIdllPKPdEEvbT0_T2_lS5_lPT1_
; %bb.0:
	s_load_dwordx2 s[28:29], s[4:5], 0x44
	s_add_u32 flat_scratch_lo, s6, s10
	s_addc_u32 flat_scratch_hi, s7, 0
	s_add_u32 s0, s0, s10
	s_mov_b64 s[26:27], s[4:5]
	s_waitcnt lgkmcnt(0)
	v_cmp_eq_u16_e64 s[4:5], s29, 1
	s_addc_u32 s1, s1, 0
	s_mov_b32 s44, s9
	v_mov_b32_e32 v41, v0
	s_and_b64 vcc, exec, s[4:5]
	s_mov_b32 s32, 0
	s_cbranch_vccnz .LBB5_2
; %bb.1:
	s_add_u32 s8, s26, 56
	s_addc_u32 s9, s27, 0
	s_getpc_b64 s[4:5]
	s_add_u32 s4, s4, .str@rel32@lo+4
	s_addc_u32 s5, s5, .str@rel32@hi+12
	s_getpc_b64 s[6:7]
	s_add_u32 s6, s6, __PRETTY_FUNCTION__._ZN9rocsolver6v33100L18potf2_kernel_smallIdllPKPdEEvbT0_T2_lS5_lPT1_@rel32@lo+4
	s_addc_u32 s7, s7, __PRETTY_FUNCTION__._ZN9rocsolver6v33100L18potf2_kernel_smallIdllPKPdEEvbT0_T2_lS5_lPT1_@rel32@hi+12
	v_mov_b32_e32 v0, s4
	v_mov_b32_e32 v1, s5
	;; [unrolled: 1-line block ×5, first 2 shown]
	s_getpc_b64 s[10:11]
	s_add_u32 s10, s10, __assert_fail@rel32@lo+4
	s_addc_u32 s11, s11, __assert_fail@rel32@hi+12
	s_swappc_b64 s[30:31], s[10:11]
	s_mov_b64 s[34:35], -1
	s_cbranch_execz .LBB5_3
	s_branch .LBB5_46
.LBB5_2:
	s_mov_b64 s[34:35], 0
.LBB5_3:
	s_load_dwordx8 s[36:43], s[26:27], 0x8
	s_waitcnt lgkmcnt(0)
	s_cmp_lg_u64 s[38:39], 0
	s_cbranch_scc0 .LBB5_18
; %bb.4:
	s_load_dwordx2 s[48:49], s[26:27], 0x30
	s_waitcnt lgkmcnt(0)
	s_cmp_lg_u64 s[48:49], 0
	s_cbranch_scc0 .LBB5_31
; %bb.5:
	s_mov_b32 s45, 0
	s_lshl_b64 s[52:53], s[44:45], 3
	s_add_u32 s4, s38, s52
	s_addc_u32 s5, s39, s53
	v_mov_b32_e32 v43, 0
	global_load_dwordx2 v[46:47], v43, s[4:5]
	s_mov_b64 s[6:7], 0
	s_waitcnt vmcnt(0)
	v_cmp_ne_u64_e32 vcc, 0, v[46:47]
	s_cbranch_vccz .LBB5_32
; %bb.6:
	s_load_dword s8, s[26:27], 0x0
	v_bfe_u32 v42, v41, 10, 10
	s_mov_b64 s[4:5], -1
	v_and_b32_e32 v44, 0x3ff, v41
	s_waitcnt lgkmcnt(0)
	s_bitcmp1_b32 s8, 0
	s_cselect_b64 s[8:9], -1, 0
	s_xor_b64 s[46:47], s[8:9], -1
	s_lshr_b32 s70, s28, 16
	s_and_b32 s71, s28, 0xffff
	v_cmp_gt_i64_e64 s[28:29], s[36:37], v[42:43]
	s_and_b64 vcc, exec, s[46:47]
	s_barrier
	s_cbranch_vccz .LBB5_19
; %bb.7:
	s_mov_b64 s[6:7], -1
	s_and_saveexec_b64 s[38:39], s[28:29]
	s_cbranch_execz .LBB5_36
; %bb.8:
	v_mad_u64_u32 v[2:3], s[6:7], s42, v42, 0
	v_mov_b32_e32 v1, 0
	v_mov_b32_e32 v0, v3
	v_mad_u64_u32 v[4:5], s[6:7], s43, v42, v[0:1]
	v_mov_b32_e32 v3, v4
	v_lshlrev_b64 v[2:3], 3, v[2:3]
	s_lshl_b64 s[6:7], s[40:41], 3
	s_lshl_b64 s[4:5], s[36:37], 1
	v_mov_b32_e32 v0, s7
	v_add_co_u32_e32 v2, vcc, s6, v2
	s_or_b32 s4, s4, 1
	v_addc_co_u32_e32 v0, vcc, v3, v0, vcc
	v_add_lshl_u32 v3, v42, v44, 3
	s_lshl_b64 s[6:7], s[42:43], 3
	v_add_co_u32_e32 v2, vcc, v2, v3
	s_add_u32 s6, s6, 8
	v_addc_co_u32_e32 v0, vcc, 0, v0, vcc
	s_addc_u32 s7, s7, 0
	s_mov_b32 s24, 0
	v_add_co_u32_e32 v2, vcc, v46, v2
	s_mul_i32 s7, s7, s70
	s_mul_hi_u32 s8, s6, s70
	s_mov_b32 s25, s24
	v_addc_co_u32_e32 v3, vcc, v47, v0, vcc
	s_add_i32 s30, s8, s7
	s_mul_i32 s31, s6, s70
	s_lshl_b32 s33, s71, 3
	s_mov_b32 s44, s24
	s_mov_b64 s[8:9], 0
	v_pk_mov_b32 v[4:5], v[42:43], v[42:43] op_sel:[0,1]
                                        ; implicit-def: $sgpr6_sgpr7
                                        ; implicit-def: $sgpr10_sgpr11
	s_branch .LBB5_10
.LBB5_9:                                ;   in Loop: Header=BB5_10 Depth=1
	s_or_b64 exec, exec, s[12:13]
	s_and_b64 s[12:13], exec, s[14:15]
	s_or_b64 s[8:9], s[12:13], s[8:9]
	s_andn2_b64 s[6:7], s[6:7], exec
	s_and_b64 s[12:13], s[10:11], exec
	s_or_b64 s[6:7], s[6:7], s[12:13]
	s_andn2_b64 exec, exec, s[8:9]
	s_cbranch_execz .LBB5_33
.LBB5_10:                               ; =>This Loop Header: Depth=1
                                        ;     Child Loop BB5_13 Depth 2
	v_add_co_u32_e32 v6, vcc, v4, v44
	v_addc_co_u32_e32 v7, vcc, 0, v5, vcc
	v_cmp_gt_i64_e32 vcc, s[36:37], v[6:7]
	s_mov_b64 s[16:17], -1
                                        ; implicit-def: $sgpr18_sgpr19
	s_and_saveexec_b64 s[12:13], vcc
	s_cbranch_execz .LBB5_16
; %bb.11:                               ;   in Loop: Header=BB5_10 Depth=1
	v_mov_b32_e32 v0, s5
	v_sub_co_u32_e32 v8, vcc, s4, v4
	v_subb_co_u32_e32 v0, vcc, v0, v5, vcc
	v_mul_lo_u32 v0, v0, v4
	v_mul_lo_u32 v9, v8, v5
	v_mul_hi_u32 v10, v8, v4
	v_add3_u32 v0, v10, v9, v0
	v_lshrrev_b32_e32 v0, 31, v0
	v_mad_u64_u32 v[8:9], s[14:15], v8, v4, v[0:1]
	v_lshrrev_b32_e32 v0, 1, v8
	v_add_u32_e32 v0, v44, v0
	v_lshl_add_u32 v0, v0, 3, 0
	s_mov_b64 s[14:15], 0
	v_pk_mov_b32 v[8:9], v[2:3], v[2:3] op_sel:[0,1]
                                        ; implicit-def: $sgpr16_sgpr17
                                        ; implicit-def: $sgpr20_sgpr21
                                        ; implicit-def: $sgpr18_sgpr19
	s_branch .LBB5_13
.LBB5_12:                               ;   in Loop: Header=BB5_13 Depth=2
	s_or_b64 exec, exec, s[22:23]
	s_xor_b64 s[22:23], s[18:19], -1
	s_and_b64 s[50:51], exec, s[20:21]
	s_or_b64 s[14:15], s[50:51], s[14:15]
	s_andn2_b64 s[16:17], s[16:17], exec
	s_and_b64 s[22:23], s[22:23], exec
	s_or_b64 s[16:17], s[16:17], s[22:23]
	s_andn2_b64 exec, exec, s[14:15]
	s_cbranch_execz .LBB5_15
.LBB5_13:                               ;   Parent Loop BB5_10 Depth=1
                                        ; =>  This Inner Loop Header: Depth=2
	v_cmp_ge_u64_e32 vcc, v[6:7], v[4:5]
	s_or_b64 s[18:19], s[18:19], exec
	s_or_b64 s[20:21], s[20:21], exec
	s_and_saveexec_b64 s[22:23], vcc
	s_cbranch_execz .LBB5_12
; %bb.14:                               ;   in Loop: Header=BB5_13 Depth=2
	flat_load_dwordx2 v[10:11], v[8:9]
	v_mov_b32_e32 v12, s24
	v_add_co_u32_e32 v6, vcc, s71, v6
	v_addc_co_u32_e32 v7, vcc, v7, v12, vcc
	v_mov_b32_e32 v13, s44
	v_add_co_u32_e32 v8, vcc, s33, v8
	v_addc_co_u32_e32 v9, vcc, v9, v13, vcc
	v_cmp_le_i64_e32 vcc, s[36:37], v[6:7]
	s_andn2_b64 s[20:21], s[20:21], exec
	s_and_b64 s[50:51], vcc, exec
	s_andn2_b64 s[18:19], s[18:19], exec
	s_or_b64 s[20:21], s[20:21], s[50:51]
	s_waitcnt vmcnt(0) lgkmcnt(0)
	ds_write_b64 v0, v[10:11]
	v_add_u32_e32 v0, s33, v0
	s_branch .LBB5_12
.LBB5_15:                               ;   in Loop: Header=BB5_10 Depth=1
	s_or_b64 exec, exec, s[14:15]
	s_mov_b64 s[18:19], -1
	s_orn2_b64 s[16:17], s[16:17], exec
.LBB5_16:                               ;   in Loop: Header=BB5_10 Depth=1
	s_or_b64 exec, exec, s[12:13]
	s_andn2_b64 s[10:11], s[10:11], exec
	s_and_b64 s[12:13], s[18:19], exec
	s_mov_b64 s[14:15], -1
	s_or_b64 s[10:11], s[10:11], s[12:13]
	s_and_saveexec_b64 s[12:13], s[16:17]
	s_cbranch_execz .LBB5_9
; %bb.17:                               ;   in Loop: Header=BB5_10 Depth=1
	v_mov_b32_e32 v0, s25
	v_add_co_u32_e32 v4, vcc, s70, v4
	v_addc_co_u32_e32 v5, vcc, v5, v0, vcc
	v_mov_b32_e32 v0, s30
	v_add_co_u32_e32 v2, vcc, s31, v2
	v_addc_co_u32_e32 v3, vcc, v3, v0, vcc
	v_cmp_le_i64_e32 vcc, s[36:37], v[4:5]
	s_andn2_b64 s[10:11], s[10:11], exec
	s_orn2_b64 s[14:15], vcc, exec
	s_branch .LBB5_9
.LBB5_18:
	s_cbranch_execnz .LBB5_45
	s_branch .LBB5_46
.LBB5_19:
	s_mov_b64 s[38:39], 0
	s_and_b64 vcc, exec, s[4:5]
	s_cbranch_vccz .LBB5_37
; %bb.20:
	s_mov_b64 s[6:7], -1
	s_and_saveexec_b64 s[4:5], s[28:29]
	s_cbranch_execz .LBB5_50
; %bb.21:
	s_lshl_b64 s[6:7], s[36:37], 1
	v_mov_b32_e32 v0, s7
	v_sub_co_u32_e32 v2, vcc, s6, v44
	v_subbrev_co_u32_e32 v0, vcc, 0, v0, vcc
	v_add_co_u32_e32 v2, vcc, 1, v2
	v_mad_u64_u32 v[4:5], s[6:7], s42, v42, 0
	v_mov_b32_e32 v1, 0
	v_addc_co_u32_e32 v3, vcc, 0, v0, vcc
	v_mov_b32_e32 v0, v5
	v_mad_u64_u32 v[6:7], s[6:7], s43, v42, v[0:1]
	v_mov_b32_e32 v5, v6
	v_lshlrev_b64 v[4:5], 3, v[4:5]
	s_lshl_b64 s[6:7], s[40:41], 3
	v_mov_b32_e32 v0, s7
	v_add_co_u32_e32 v4, vcc, s6, v4
	v_addc_co_u32_e32 v0, vcc, v5, v0, vcc
	v_lshlrev_b32_e32 v5, 3, v44
	v_add_co_u32_e32 v4, vcc, v4, v5
	v_addc_co_u32_e32 v0, vcc, 0, v0, vcc
	s_mul_i32 s6, s43, s70
	s_mul_hi_u32 s7, s42, s70
	s_mov_b32 s24, 0
	v_add_co_u32_e32 v4, vcc, v46, v4
	s_add_i32 s7, s7, s6
	s_mul_i32 s6, s42, s70
	v_mov_b32_e32 v45, v1
	s_mov_b32 s25, s24
	v_sub_u32_e32 v14, v42, v44
	v_addc_co_u32_e32 v5, vcc, v47, v0, vcc
	s_lshl_b64 s[6:7], s[6:7], 3
	s_lshl_b32 s30, s71, 3
	s_mov_b32 s31, s24
	s_mov_b64 s[8:9], 0
	v_pk_mov_b32 v[6:7], v[42:43], v[42:43] op_sel:[0,1]
                                        ; implicit-def: $sgpr10_sgpr11
	s_branch .LBB5_23
.LBB5_22:                               ;   in Loop: Header=BB5_23 Depth=1
	s_or_b64 exec, exec, s[12:13]
	s_xor_b64 s[12:13], s[14:15], -1
	s_and_b64 s[14:15], exec, s[16:17]
	s_or_b64 s[8:9], s[14:15], s[8:9]
	s_andn2_b64 s[10:11], s[10:11], exec
	s_and_b64 s[12:13], s[12:13], exec
	s_or_b64 s[10:11], s[10:11], s[12:13]
	s_andn2_b64 exec, exec, s[8:9]
	s_cbranch_execz .LBB5_49
.LBB5_23:                               ; =>This Loop Header: Depth=1
                                        ;     Child Loop BB5_26 Depth 2
	v_cmp_ge_u64_e32 vcc, v[6:7], v[44:45]
	s_mov_b64 s[18:19], -1
                                        ; implicit-def: $sgpr14_sgpr15
	s_and_saveexec_b64 s[12:13], vcc
	s_cbranch_execz .LBB5_29
; %bb.24:                               ;   in Loop: Header=BB5_23 Depth=1
	s_mov_b64 s[14:15], 0
	v_pk_mov_b32 v[8:9], v[4:5], v[4:5] op_sel:[0,1]
	v_mov_b32_e32 v15, v14
	v_pk_mov_b32 v[10:11], v[2:3], v[2:3] op_sel:[0,1]
	v_pk_mov_b32 v[12:13], v[44:45], v[44:45] op_sel:[0,1]
                                        ; implicit-def: $sgpr16_sgpr17
                                        ; implicit-def: $sgpr20_sgpr21
                                        ; implicit-def: $sgpr18_sgpr19
	s_branch .LBB5_26
.LBB5_25:                               ;   in Loop: Header=BB5_26 Depth=2
	s_or_b64 exec, exec, s[22:23]
	s_xor_b64 s[22:23], s[18:19], -1
	s_and_b64 s[38:39], exec, s[20:21]
	s_or_b64 s[14:15], s[38:39], s[14:15]
	s_andn2_b64 s[16:17], s[16:17], exec
	s_and_b64 s[22:23], s[22:23], exec
	s_or_b64 s[16:17], s[16:17], s[22:23]
	s_andn2_b64 exec, exec, s[14:15]
	s_cbranch_execz .LBB5_28
.LBB5_26:                               ;   Parent Loop BB5_23 Depth=1
                                        ; =>  This Inner Loop Header: Depth=2
	v_cmp_gt_i64_e32 vcc, s[36:37], v[12:13]
	s_or_b64 s[18:19], s[18:19], exec
	s_or_b64 s[20:21], s[20:21], exec
	s_and_saveexec_b64 s[22:23], vcc
	s_cbranch_execz .LBB5_25
; %bb.27:                               ;   in Loop: Header=BB5_26 Depth=2
	flat_load_dwordx2 v[16:17], v[8:9]
	v_mul_lo_u32 v0, v11, v12
	v_mul_lo_u32 v18, v10, v13
	v_mul_hi_u32 v19, v10, v12
	v_mov_b32_e32 v21, s31
	v_add3_u32 v0, v19, v18, v0
	v_add_co_u32_e32 v8, vcc, s30, v8
	v_addc_co_u32_e32 v9, vcc, v9, v21, vcc
	v_lshrrev_b32_e32 v0, 31, v0
	v_mov_b32_e32 v20, s24
	v_mad_u64_u32 v[18:19], s[38:39], v10, v12, v[0:1]
	v_add_co_u32_e32 v12, vcc, s71, v12
	v_addc_co_u32_e32 v13, vcc, v13, v20, vcc
	v_subrev_co_u32_e32 v10, vcc, s71, v10
	v_subb_co_u32_e32 v11, vcc, v11, v20, vcc
	v_lshrrev_b32_e32 v0, 1, v18
	v_cmp_gt_u64_e32 vcc, v[12:13], v[6:7]
	s_andn2_b64 s[20:21], s[20:21], exec
	v_add_u32_e32 v0, v15, v0
	s_and_b64 s[38:39], vcc, exec
	s_andn2_b64 s[18:19], s[18:19], exec
	v_subrev_u32_e32 v15, s71, v15
	v_lshl_add_u32 v0, v0, 3, 0
	s_or_b64 s[20:21], s[20:21], s[38:39]
	s_waitcnt vmcnt(0) lgkmcnt(0)
	ds_write_b64 v0, v[16:17]
	s_branch .LBB5_25
.LBB5_28:                               ;   in Loop: Header=BB5_23 Depth=1
	s_or_b64 exec, exec, s[14:15]
	s_mov_b64 s[14:15], -1
	s_orn2_b64 s[18:19], s[16:17], exec
.LBB5_29:                               ;   in Loop: Header=BB5_23 Depth=1
	s_or_b64 exec, exec, s[12:13]
	s_mov_b64 s[16:17], -1
	s_and_saveexec_b64 s[12:13], s[18:19]
	s_cbranch_execz .LBB5_22
; %bb.30:                               ;   in Loop: Header=BB5_23 Depth=1
	v_mov_b32_e32 v0, s25
	v_add_co_u32_e32 v6, vcc, s70, v6
	v_addc_co_u32_e32 v7, vcc, v7, v0, vcc
	v_mov_b32_e32 v0, s7
	v_add_co_u32_e32 v4, vcc, s6, v4
	v_addc_co_u32_e32 v5, vcc, v5, v0, vcc
	v_cmp_le_i64_e32 vcc, s[36:37], v[6:7]
	v_add_u32_e32 v14, s70, v14
	s_andn2_b64 s[14:15], s[14:15], exec
	s_orn2_b64 s[16:17], vcc, exec
	s_branch .LBB5_22
.LBB5_31:
	s_cbranch_execnz .LBB5_43
	s_branch .LBB5_44
.LBB5_32:
	s_cbranch_execnz .LBB5_41
	s_branch .LBB5_42
.LBB5_33:
	s_or_b64 exec, exec, s[8:9]
	s_mov_b64 s[4:5], -1
	s_mov_b64 s[8:9], s[34:35]
	s_and_saveexec_b64 s[10:11], s[6:7]
	s_xor_b64 s[44:45], exec, s[10:11]
	s_cbranch_execz .LBB5_35
; %bb.34:
	s_add_u32 s8, s26, 56
	s_addc_u32 s9, s27, 0
	s_getpc_b64 s[4:5]
	s_add_u32 s4, s4, .str.8@rel32@lo+4
	s_addc_u32 s5, s5, .str.8@rel32@hi+12
	s_getpc_b64 s[6:7]
	s_add_u32 s6, s6, __PRETTY_FUNCTION__._ZN9rocsolver6v33100L9idx_lowerIlEET_S2_S2_S2_@rel32@lo+4
	s_addc_u32 s7, s7, __PRETTY_FUNCTION__._ZN9rocsolver6v33100L9idx_lowerIlEET_S2_S2_S2_@rel32@hi+12
	v_mov_b32_e32 v0, s4
	v_mov_b32_e32 v1, s5
	;; [unrolled: 1-line block ×5, first 2 shown]
	s_getpc_b64 s[10:11]
	s_add_u32 s10, s10, __assert_fail@rel32@lo+4
	s_addc_u32 s11, s11, __assert_fail@rel32@hi+12
	s_swappc_b64 s[30:31], s[10:11]
	s_or_b64 s[8:9], s[34:35], exec
	s_xor_b64 s[4:5], exec, -1
.LBB5_35:
	s_or_b64 exec, exec, s[44:45]
	s_andn2_b64 s[6:7], s[34:35], exec
	s_and_b64 s[8:9], s[8:9], exec
	s_or_b64 s[34:35], s[6:7], s[8:9]
	s_orn2_b64 s[6:7], s[4:5], exec
.LBB5_36:
	s_or_b64 exec, exec, s[38:39]
	s_mov_b64 s[38:39], 0
.LBB5_37:
	s_and_saveexec_b64 s[44:45], s[6:7]
	s_cbranch_execnz .LBB5_51
.LBB5_38:
	s_or_b64 exec, exec, s[44:45]
	s_and_saveexec_b64 s[4:5], s[38:39]
	s_xor_b64 s[28:29], exec, s[4:5]
	s_cbranch_execz .LBB5_40
.LBB5_39:
	s_add_u32 s8, s26, 56
	s_addc_u32 s9, s27, 0
	s_getpc_b64 s[4:5]
	s_add_u32 s4, s4, .str.7@rel32@lo+4
	s_addc_u32 s5, s5, .str.7@rel32@hi+12
	s_getpc_b64 s[6:7]
	s_add_u32 s6, s6, __PRETTY_FUNCTION__._ZN9rocsolver6v33100L9idx_lowerIlEET_S2_S2_S2_@rel32@lo+4
	s_addc_u32 s7, s7, __PRETTY_FUNCTION__._ZN9rocsolver6v33100L9idx_lowerIlEET_S2_S2_S2_@rel32@hi+12
	v_mov_b32_e32 v0, s4
	v_mov_b32_e32 v1, s5
	;; [unrolled: 1-line block ×5, first 2 shown]
	s_getpc_b64 s[10:11]
	s_add_u32 s10, s10, __assert_fail@rel32@lo+4
	s_addc_u32 s11, s11, __assert_fail@rel32@hi+12
	s_swappc_b64 s[30:31], s[10:11]
	s_or_b64 s[34:35], s[34:35], exec
.LBB5_40:
	s_or_b64 exec, exec, s[28:29]
	s_branch .LBB5_42
.LBB5_41:
	s_add_u32 s8, s26, 56
	s_addc_u32 s9, s27, 0
	s_getpc_b64 s[4:5]
	s_add_u32 s4, s4, .str.4@rel32@lo+4
	s_addc_u32 s5, s5, .str.4@rel32@hi+12
	s_getpc_b64 s[6:7]
	s_add_u32 s6, s6, __PRETTY_FUNCTION__._ZN9rocsolver6v33100L18potf2_kernel_smallIdllPKPdEEvbT0_T2_lS5_lPT1_@rel32@lo+4
	s_addc_u32 s7, s7, __PRETTY_FUNCTION__._ZN9rocsolver6v33100L18potf2_kernel_smallIdllPKPdEEvbT0_T2_lS5_lPT1_@rel32@hi+12
	v_mov_b32_e32 v0, s4
	v_mov_b32_e32 v1, s5
	;; [unrolled: 1-line block ×5, first 2 shown]
	s_getpc_b64 s[10:11]
	s_add_u32 s10, s10, __assert_fail@rel32@lo+4
	s_addc_u32 s11, s11, __assert_fail@rel32@hi+12
	s_swappc_b64 s[30:31], s[10:11]
	s_or_b64 s[34:35], s[34:35], exec
.LBB5_42:
	s_branch .LBB5_44
.LBB5_43:
	s_add_u32 s8, s26, 56
	s_addc_u32 s9, s27, 0
	s_getpc_b64 s[4:5]
	s_add_u32 s4, s4, .str.3@rel32@lo+4
	s_addc_u32 s5, s5, .str.3@rel32@hi+12
	s_getpc_b64 s[6:7]
	s_add_u32 s6, s6, __PRETTY_FUNCTION__._ZN9rocsolver6v33100L18potf2_kernel_smallIdllPKPdEEvbT0_T2_lS5_lPT1_@rel32@lo+4
	s_addc_u32 s7, s7, __PRETTY_FUNCTION__._ZN9rocsolver6v33100L18potf2_kernel_smallIdllPKPdEEvbT0_T2_lS5_lPT1_@rel32@hi+12
	v_mov_b32_e32 v0, s4
	v_mov_b32_e32 v1, s5
	;; [unrolled: 1-line block ×5, first 2 shown]
	s_getpc_b64 s[10:11]
	s_add_u32 s10, s10, __assert_fail@rel32@lo+4
	s_addc_u32 s11, s11, __assert_fail@rel32@hi+12
	s_swappc_b64 s[30:31], s[10:11]
	s_or_b64 s[34:35], s[34:35], exec
.LBB5_44:
	s_branch .LBB5_46
.LBB5_45:
	s_add_u32 s8, s26, 56
	s_addc_u32 s9, s27, 0
	s_getpc_b64 s[4:5]
	s_add_u32 s4, s4, .str.2@rel32@lo+4
	s_addc_u32 s5, s5, .str.2@rel32@hi+12
	s_getpc_b64 s[6:7]
	s_add_u32 s6, s6, __PRETTY_FUNCTION__._ZN9rocsolver6v33100L18potf2_kernel_smallIdllPKPdEEvbT0_T2_lS5_lPT1_@rel32@lo+4
	s_addc_u32 s7, s7, __PRETTY_FUNCTION__._ZN9rocsolver6v33100L18potf2_kernel_smallIdllPKPdEEvbT0_T2_lS5_lPT1_@rel32@hi+12
	v_mov_b32_e32 v0, s4
	v_mov_b32_e32 v1, s5
	;; [unrolled: 1-line block ×5, first 2 shown]
	s_getpc_b64 s[10:11]
	s_add_u32 s10, s10, __assert_fail@rel32@lo+4
	s_addc_u32 s11, s11, __assert_fail@rel32@hi+12
	s_swappc_b64 s[30:31], s[10:11]
	s_or_b64 s[34:35], s[34:35], exec
.LBB5_46:
	s_and_saveexec_b64 s[4:5], s[34:35]
; %bb.47:
	; divergent unreachable
; %bb.48:
	s_endpgm
.LBB5_49:
	s_or_b64 exec, exec, s[8:9]
	s_mov_b64 s[38:39], exec
	s_orn2_b64 s[6:7], s[10:11], exec
.LBB5_50:
	s_or_b64 exec, exec, s[4:5]
	s_and_saveexec_b64 s[44:45], s[6:7]
	s_cbranch_execz .LBB5_38
.LBB5_51:
	v_cmp_gt_i64_e64 s[4:5], s[36:37], 0
	s_mov_b64 s[50:51], 0
	s_and_b64 vcc, exec, s[4:5]
	s_waitcnt lgkmcnt(0)
	s_barrier
	s_cbranch_vccz .LBB5_91
; %bb.52:
	s_mul_i32 s33, s70, s71
	v_bfe_u32 v1, v41, 20, 10
	s_add_u32 s10, s48, s52
	v_mul_u32_u24_e32 v0, s71, v42
	v_mul_lo_u32 v1, s33, v1
	s_addc_u32 s11, s49, s53
	v_add3_u32 v0, v0, v44, v1
	s_lshl_b64 s[12:13], s[36:37], 1
	s_mov_b32 s72, 0
	s_mov_b32 s20, 0
	s_or_b32 s12, s12, 1
	v_cmp_eq_u32_e64 s[4:5], 0, v0
	v_mov_b32_e32 v3, 0
	s_mov_b32 s73, s72
	s_mov_b32 s74, s72
	s_lshl_b32 s75, s33, 3
	v_sub_u32_e32 v1, v44, v42
	s_lshl_b32 s76, s71, 3
	s_mov_b64 s[16:17], 0
	v_mov_b32_e32 v12, 0x180
	s_brev_b32 s21, 8
	v_mov_b32_e32 v13, 0x260
	s_mov_b64 s[8:9], 0
	s_mov_b64 s[22:23], 0
                                        ; implicit-def: $sgpr18_sgpr19
                                        ; implicit-def: $sgpr14_sgpr15
	s_branch .LBB5_55
.LBB5_53:                               ;   in Loop: Header=BB5_55 Depth=1
	s_andn2_b64 s[48:49], s[48:49], exec
	s_andn2_b64 s[30:31], s[30:31], exec
	s_orn2_b64 s[50:51], s[50:51], exec
.LBB5_54:                               ;   in Loop: Header=BB5_55 Depth=1
	s_or_b64 exec, exec, s[24:25]
	s_xor_b64 s[6:7], s[48:49], -1
	s_xor_b64 s[24:25], s[30:31], -1
	s_and_b64 s[30:31], exec, s[50:51]
	s_or_b64 s[16:17], s[30:31], s[16:17]
	s_andn2_b64 s[14:15], s[14:15], exec
	s_and_b64 s[6:7], s[6:7], exec
	s_or_b64 s[14:15], s[14:15], s[6:7]
	s_andn2_b64 s[6:7], s[18:19], exec
	s_and_b64 s[18:19], s[24:25], exec
	s_or_b64 s[18:19], s[6:7], s[18:19]
	s_andn2_b64 exec, exec, s[16:17]
	s_cbranch_execz .LBB5_88
.LBB5_55:                               ; =>This Loop Header: Depth=1
                                        ;     Child Loop BB5_66 Depth 2
                                        ;     Child Loop BB5_75 Depth 2
                                        ;       Child Loop BB5_79 Depth 3
	s_add_u32 s6, s8, s12
	s_addc_u32 s7, s9, s13
	s_mul_i32 s9, s6, s23
	s_mul_hi_u32 s24, s6, s22
	s_add_i32 s9, s24, s9
	s_mul_i32 s7, s7, s22
	s_add_i32 s9, s9, s7
	s_mul_i32 s6, s6, s22
	s_lshr_b32 s7, s9, 31
	s_add_u32 s6, s6, s7
	s_addc_u32 s7, s9, 0
	s_ashr_i64 s[50:51], s[6:7], 1
	s_lshl_b32 s6, s50, 3
	s_add_i32 s9, s6, 0
	v_mov_b32_e32 v2, s9
	ds_read_b64 v[4:5], v2
	s_mov_b64 s[24:25], 0
	s_mov_b64 s[30:31], -1
	s_waitcnt lgkmcnt(0)
	v_cmp_class_f64_e64 s[6:7], v[4:5], v12
	s_and_b64 vcc, exec, s[6:7]
	s_cbranch_vccnz .LBB5_60
; %bb.56:                               ;   in Loop: Header=BB5_55 Depth=1
	s_and_saveexec_b64 s[24:25], s[4:5]
	s_cbranch_execz .LBB5_59
; %bb.57:                               ;   in Loop: Header=BB5_55 Depth=1
	global_load_dwordx2 v[6:7], v3, s[10:11]
	s_waitcnt vmcnt(0)
	v_cmp_ne_u64_e32 vcc, 0, v[6:7]
	s_cbranch_vccnz .LBB5_59
; %bb.58:                               ;   in Loop: Header=BB5_55 Depth=1
	s_add_u32 s30, s22, 1
	s_addc_u32 s31, s23, 0
	v_pk_mov_b32 v[6:7], s[30:31], s[30:31] op_sel:[0,1]
	global_store_dwordx2 v3, v[6:7], s[10:11]
.LBB5_59:                               ;   in Loop: Header=BB5_55 Depth=1
	s_or_b64 exec, exec, s[24:25]
	s_mov_b64 s[30:31], 0
	s_mov_b64 s[24:25], -1
.LBB5_60:                               ;   in Loop: Header=BB5_55 Depth=1
	s_andn2_b64 vcc, exec, s[30:31]
	s_cbranch_vccnz .LBB5_68
; %bb.61:                               ;   in Loop: Header=BB5_55 Depth=1
	v_cmp_gt_f64_e32 vcc, s[20:21], v[4:5]
	v_cndmask_b32_e64 v2, 0, 1, vcc
	v_lshlrev_b32_e32 v2, 8, v2
	v_ldexp_f64 v[4:5], v[4:5], v2
	v_rsq_f64_e32 v[6:7], v[4:5]
	s_and_b64 s[30:31], vcc, exec
	s_cselect_b32 s30, 0xffffff80, 0
	v_cmp_class_f64_e32 vcc, v[4:5], v13
	v_mul_f64 v[8:9], v[4:5], v[6:7]
	v_mul_f64 v[6:7], v[6:7], 0.5
	v_fma_f64 v[10:11], -v[6:7], v[8:9], 0.5
	v_fmac_f64_e32 v[8:9], v[8:9], v[10:11]
	v_fmac_f64_e32 v[6:7], v[6:7], v[10:11]
	v_fma_f64 v[10:11], -v[8:9], v[8:9], v[4:5]
	v_fmac_f64_e32 v[8:9], v[10:11], v[6:7]
	v_fma_f64 v[10:11], -v[8:9], v[8:9], v[4:5]
	v_fmac_f64_e32 v[8:9], v[10:11], v[6:7]
	v_ldexp_f64 v[6:7], v[8:9], s30
	v_cndmask_b32_e32 v5, v7, v5, vcc
	v_cndmask_b32_e32 v4, v6, v4, vcc
	s_and_saveexec_b64 s[30:31], s[4:5]
	s_cbranch_execz .LBB5_63
; %bb.62:                               ;   in Loop: Header=BB5_55 Depth=1
	v_mov_b32_e32 v2, s9
	ds_write_b64 v2, v[4:5]
.LBB5_63:                               ;   in Loop: Header=BB5_55 Depth=1
	s_or_b64 exec, exec, s[30:31]
	s_add_u32 s9, s22, 1
	s_addc_u32 s51, s23, 0
	v_mov_b32_e32 v2, s51
	v_add_co_u32_e32 v6, vcc, s9, v0
	v_addc_co_u32_e32 v7, vcc, 0, v2, vcc
	v_cmp_gt_i64_e32 vcc, s[36:37], v[6:7]
	s_mov_b64 s[54:55], -1
	s_waitcnt lgkmcnt(0)
	s_barrier
	s_waitcnt lgkmcnt(0)
                                        ; implicit-def: $sgpr48_sgpr49
                                        ; implicit-def: $sgpr30_sgpr31
	s_and_saveexec_b64 s[52:53], vcc
	s_cbranch_execz .LBB5_70
; %bb.64:                               ;   in Loop: Header=BB5_55 Depth=1
	v_add_lshl_u32 v2, v0, s50, 3
	v_add3_u32 v2, 0, 8, v2
	s_mov_b64 s[30:31], 0
                                        ; implicit-def: $sgpr54_sgpr55
                                        ; implicit-def: $sgpr56_sgpr57
                                        ; implicit-def: $sgpr48_sgpr49
	s_branch .LBB5_66
.LBB5_65:                               ;   in Loop: Header=BB5_66 Depth=2
	s_or_b64 exec, exec, s[58:59]
	s_xor_b64 s[58:59], s[48:49], -1
	s_and_b64 s[60:61], exec, s[56:57]
	s_or_b64 s[30:31], s[60:61], s[30:31]
	s_andn2_b64 s[54:55], s[54:55], exec
	s_and_b64 s[58:59], s[58:59], exec
	s_or_b64 s[54:55], s[54:55], s[58:59]
	s_andn2_b64 exec, exec, s[30:31]
	s_cbranch_execz .LBB5_69
.LBB5_66:                               ;   Parent Loop BB5_55 Depth=1
                                        ; =>  This Inner Loop Header: Depth=2
	v_cmp_le_u64_e32 vcc, s[22:23], v[6:7]
	s_or_b64 s[48:49], s[48:49], exec
	s_or_b64 s[56:57], s[56:57], exec
	s_and_saveexec_b64 s[58:59], vcc
	s_cbranch_execz .LBB5_65
; %bb.67:                               ;   in Loop: Header=BB5_66 Depth=2
	ds_read_b64 v[8:9], v2
	v_mov_b32_e32 v20, s72
	s_andn2_b64 s[56:57], s[56:57], exec
	s_andn2_b64 s[48:49], s[48:49], exec
	s_waitcnt lgkmcnt(0)
	v_div_scale_f64 v[10:11], s[60:61], v[4:5], v[4:5], v[8:9]
	v_rcp_f64_e32 v[14:15], v[10:11]
	v_div_scale_f64 v[16:17], vcc, v[8:9], v[4:5], v[8:9]
	v_fma_f64 v[18:19], -v[10:11], v[14:15], 1.0
	v_fmac_f64_e32 v[14:15], v[14:15], v[18:19]
	v_fma_f64 v[18:19], -v[10:11], v[14:15], 1.0
	v_fmac_f64_e32 v[14:15], v[14:15], v[18:19]
	v_mul_f64 v[18:19], v[16:17], v[14:15]
	v_fma_f64 v[10:11], -v[10:11], v[18:19], v[16:17]
	v_div_fmas_f64 v[10:11], v[10:11], v[14:15], v[18:19]
	v_add_co_u32_e32 v6, vcc, s33, v6
	v_addc_co_u32_e32 v7, vcc, v7, v20, vcc
	v_cmp_le_i64_e32 vcc, s[36:37], v[6:7]
	v_div_fixup_f64 v[8:9], v[10:11], v[4:5], v[8:9]
	s_and_b64 s[60:61], vcc, exec
	ds_write_b64 v2, v[8:9]
	v_add_u32_e32 v2, s75, v2
	s_or_b64 s[56:57], s[56:57], s[60:61]
	s_branch .LBB5_65
.LBB5_68:                               ;   in Loop: Header=BB5_55 Depth=1
                                        ; implicit-def: $sgpr30_sgpr31
                                        ; implicit-def: $sgpr48_sgpr49
	s_mov_b64 s[50:51], -1
                                        ; implicit-def: $sgpr8_sgpr9
	s_and_saveexec_b64 s[52:53], s[24:25]
	s_xor_b64 s[24:25], exec, s[52:53]
	s_cbranch_execz .LBB5_54
	s_branch .LBB5_86
.LBB5_69:                               ;   in Loop: Header=BB5_55 Depth=1
	s_or_b64 exec, exec, s[30:31]
	s_mov_b64 s[30:31], -1
	s_mov_b64 s[48:49], 0
	s_orn2_b64 s[54:55], s[54:55], exec
.LBB5_70:                               ;   in Loop: Header=BB5_55 Depth=1
	s_or_b64 exec, exec, s[52:53]
	s_and_saveexec_b64 s[52:53], s[54:55]
	s_xor_b64 s[52:53], exec, s[52:53]
	s_cbranch_execz .LBB5_85
; %bb.71:                               ;   in Loop: Header=BB5_55 Depth=1
	v_mov_b32_e32 v2, s51
	v_add_co_u32_e32 v4, vcc, s9, v42
	v_addc_co_u32_e32 v5, vcc, 0, v2, vcc
	v_cmp_gt_i64_e32 vcc, s[36:37], v[4:5]
	s_mov_b64 s[56:57], -1
	s_waitcnt lgkmcnt(0)
	s_barrier
	s_waitcnt lgkmcnt(0)
                                        ; implicit-def: $sgpr60_sgpr61
                                        ; implicit-def: $sgpr58_sgpr59
	s_and_saveexec_b64 s[54:55], vcc
	s_cbranch_execz .LBB5_82
; %bb.72:                               ;   in Loop: Header=BB5_55 Depth=1
	v_mov_b32_e32 v2, s51
	v_add_co_u32_e32 v6, vcc, s9, v44
	v_addc_co_u32_e32 v7, vcc, 0, v2, vcc
	s_add_u32 s77, s50, s8
	v_cmp_gt_i64_e32 vcc, s[36:37], v[6:7]
	v_add_lshl_u32 v14, v44, s50, 3
	s_mov_b64 s[50:51], 0
	v_mov_b32_e32 v15, v1
                                        ; implicit-def: $sgpr56_sgpr57
                                        ; implicit-def: $sgpr60_sgpr61
                                        ; implicit-def: $sgpr58_sgpr59
	s_branch .LBB5_75
.LBB5_73:                               ;   in Loop: Header=BB5_75 Depth=2
	s_or_b64 exec, exec, s[64:65]
	v_mov_b32_e32 v2, s74
	v_add_co_u32_e64 v4, s[8:9], s70, v4
	v_addc_co_u32_e64 v5, s[8:9], v5, v2, s[8:9]
	v_cmp_le_i64_e64 s[8:9], s[36:37], v[4:5]
	s_andn2_b64 s[60:61], s[60:61], exec
	s_and_b64 s[8:9], s[8:9], exec
	v_subrev_u32_e32 v15, s70, v15
	s_andn2_b64 s[58:59], s[58:59], exec
	s_or_b64 s[60:61], s[60:61], s[8:9]
.LBB5_74:                               ;   in Loop: Header=BB5_75 Depth=2
	s_or_b64 exec, exec, s[62:63]
	s_xor_b64 s[8:9], s[58:59], -1
	s_and_b64 s[62:63], exec, s[60:61]
	s_or_b64 s[50:51], s[62:63], s[50:51]
	s_andn2_b64 s[56:57], s[56:57], exec
	s_and_b64 s[8:9], s[8:9], exec
	s_or_b64 s[56:57], s[56:57], s[8:9]
	s_andn2_b64 exec, exec, s[50:51]
	s_cbranch_execz .LBB5_81
.LBB5_75:                               ;   Parent Loop BB5_55 Depth=1
                                        ; =>  This Loop Header: Depth=2
                                        ;       Child Loop BB5_79 Depth 3
	v_cmp_le_u64_e64 s[8:9], s[22:23], v[4:5]
	s_or_b64 s[58:59], s[58:59], exec
	s_or_b64 s[60:61], s[60:61], exec
	s_and_saveexec_b64 s[62:63], s[8:9]
	s_cbranch_execz .LBB5_74
; %bb.76:                               ;   in Loop: Header=BB5_75 Depth=2
	s_and_saveexec_b64 s[64:65], vcc
	s_cbranch_execz .LBB5_73
; %bb.77:                               ;   in Loop: Header=BB5_75 Depth=2
	v_add_u32_e32 v2, s77, v4
	v_lshl_add_u32 v2, v2, 3, 0
	s_waitcnt lgkmcnt(0)
	ds_read_b64 v[8:9], v2
	v_mov_b32_e32 v2, s13
	v_sub_co_u32_e64 v10, s[8:9], s12, v4
	v_subb_co_u32_e64 v2, s[8:9], v2, v5, s[8:9]
	v_mul_lo_u32 v2, v2, v4
	v_mul_lo_u32 v11, v10, v5
	v_mul_hi_u32 v16, v10, v4
	v_add3_u32 v2, v16, v11, v2
	v_lshrrev_b32_e32 v2, 31, v2
	v_mad_u64_u32 v[10:11], s[8:9], v10, v4, v[2:3]
	v_lshrrev_b32_e32 v2, 1, v10
	s_mov_b32 s78, 0
	v_add_lshl_u32 v2, v15, v2, 3
	s_mov_b64 s[66:67], 0
	v_pk_mov_b32 v[10:11], v[6:7], v[6:7] op_sel:[0,1]
	s_branch .LBB5_79
.LBB5_78:                               ;   in Loop: Header=BB5_79 Depth=3
	s_or_b64 exec, exec, s[68:69]
	v_mov_b32_e32 v16, s73
	v_add_co_u32_e64 v10, s[8:9], s71, v10
	v_addc_co_u32_e64 v11, s[8:9], v11, v16, s[8:9]
	s_add_i32 s78, s78, s76
	v_cmp_le_i64_e64 s[8:9], s[36:37], v[10:11]
	s_or_b64 s[66:67], s[8:9], s[66:67]
	s_andn2_b64 exec, exec, s[66:67]
	s_cbranch_execz .LBB5_73
.LBB5_79:                               ;   Parent Loop BB5_55 Depth=1
                                        ;     Parent Loop BB5_75 Depth=2
                                        ; =>    This Inner Loop Header: Depth=3
	v_cmp_ge_u64_e64 s[8:9], v[10:11], v[4:5]
	s_and_saveexec_b64 s[68:69], s[8:9]
	s_cbranch_execz .LBB5_78
; %bb.80:                               ;   in Loop: Header=BB5_79 Depth=3
	v_add_u32_e32 v16, s78, v14
	v_add_u32_e32 v20, s78, v2
	ds_read_b64 v[16:17], v16 offset:8
	ds_read_b64 v[18:19], v20
	s_waitcnt lgkmcnt(0)
	v_fma_f64 v[16:17], -v[8:9], v[16:17], v[18:19]
	ds_write_b64 v20, v[16:17]
	s_branch .LBB5_78
.LBB5_81:                               ;   in Loop: Header=BB5_55 Depth=1
	s_or_b64 exec, exec, s[50:51]
	s_mov_b64 s[58:59], 0
	s_mov_b64 s[60:61], -1
	s_orn2_b64 s[56:57], s[56:57], exec
.LBB5_82:                               ;   in Loop: Header=BB5_55 Depth=1
	s_or_b64 exec, exec, s[54:55]
	s_mov_b64 s[8:9], s[24:25]
	s_and_saveexec_b64 s[50:51], s[56:57]
	s_cbranch_execz .LBB5_84
; %bb.83:                               ;   in Loop: Header=BB5_55 Depth=1
	s_or_b64 s[8:9], s[24:25], exec
	s_waitcnt lgkmcnt(0)
	s_barrier
	s_waitcnt lgkmcnt(0)
                                        ; implicit-def: $sgpr60_sgpr61
                                        ; implicit-def: $sgpr58_sgpr59
.LBB5_84:                               ;   in Loop: Header=BB5_55 Depth=1
	s_or_b64 exec, exec, s[50:51]
	s_andn2_b64 s[48:49], s[48:49], exec
	s_and_b64 s[50:51], s[60:61], exec
	s_or_b64 s[48:49], s[48:49], s[50:51]
	s_andn2_b64 s[30:31], s[30:31], exec
	s_and_b64 s[50:51], s[58:59], exec
	s_andn2_b64 s[24:25], s[24:25], exec
	s_and_b64 s[8:9], s[8:9], exec
	s_or_b64 s[30:31], s[30:31], s[50:51]
	s_or_b64 s[24:25], s[24:25], s[8:9]
.LBB5_85:                               ;   in Loop: Header=BB5_55 Depth=1
	s_or_b64 exec, exec, s[52:53]
	s_mov_b64 s[50:51], -1
                                        ; implicit-def: $sgpr8_sgpr9
	s_and_saveexec_b64 s[52:53], s[24:25]
	s_xor_b64 s[24:25], exec, s[52:53]
	s_cbranch_execz .LBB5_54
.LBB5_86:                               ;   in Loop: Header=BB5_55 Depth=1
	s_and_b64 vcc, exec, s[6:7]
                                        ; implicit-def: $sgpr8_sgpr9
	s_cbranch_vccz .LBB5_53
; %bb.87:                               ;   in Loop: Header=BB5_55 Depth=1
	s_add_u32 s6, s22, 1
	s_addc_u32 s7, s23, 0
	s_not_b64 s[8:9], s[22:23]
	s_cmp_eq_u64 s[6:7], s[36:37]
	s_cselect_b64 s[50:51], -1, 0
	s_mov_b64 s[22:23], s[6:7]
	s_branch .LBB5_53
.LBB5_88:
	s_or_b64 exec, exec, s[16:17]
	s_mov_b64 s[4:5], 0
	s_mov_b64 s[48:49], -1
	s_mov_b64 s[50:51], 0
	s_and_saveexec_b64 s[6:7], s[18:19]
	s_xor_b64 s[6:7], exec, s[6:7]
; %bb.89:
	s_mov_b64 s[50:51], exec
	s_xor_b64 s[48:49], exec, -1
	s_and_b64 s[4:5], s[14:15], exec
; %bb.90:
	s_or_b64 exec, exec, s[6:7]
	s_mov_b64 s[54:55], s[34:35]
	s_and_saveexec_b64 s[52:53], s[4:5]
	s_cbranch_execnz .LBB5_92
	s_branch .LBB5_127
.LBB5_91:
	s_mov_b64 s[4:5], -1
	s_mov_b64 s[48:49], 0
	s_mov_b64 s[54:55], s[34:35]
	s_and_saveexec_b64 s[52:53], s[4:5]
	s_cbranch_execz .LBB5_127
.LBB5_92:
	s_mov_b64 s[4:5], -1
	s_mov_b64 s[54:55], 0
	s_and_b64 vcc, exec, s[46:47]
	s_mov_b64 s[6:7], 0
	s_mov_b64 s[46:47], s[34:35]
	s_waitcnt lgkmcnt(0)
	s_barrier
	s_cbranch_vccz .LBB5_104
; %bb.93:
	s_mov_b64 s[6:7], -1
	s_mov_b64 s[46:47], s[34:35]
	s_and_saveexec_b64 s[56:57], s[28:29]
	s_cbranch_execz .LBB5_119
; %bb.94:
	v_mad_u64_u32 v[2:3], s[6:7], s42, v42, 0
	v_mov_b32_e32 v1, 0
	v_mov_b32_e32 v0, v3
	v_mad_u64_u32 v[4:5], s[6:7], s43, v42, v[0:1]
	v_mov_b32_e32 v3, v4
	v_lshlrev_b64 v[2:3], 3, v[2:3]
	s_lshl_b64 s[6:7], s[40:41], 3
	s_lshl_b64 s[4:5], s[36:37], 1
	v_mov_b32_e32 v0, s7
	v_add_co_u32_e32 v2, vcc, s6, v2
	s_or_b32 s4, s4, 1
	v_addc_co_u32_e32 v0, vcc, v3, v0, vcc
	v_add_lshl_u32 v3, v42, v44, 3
	s_lshl_b64 s[6:7], s[42:43], 3
	v_add_co_u32_e32 v2, vcc, v2, v3
	s_add_u32 s6, s6, 8
	v_addc_co_u32_e32 v0, vcc, 0, v0, vcc
	s_addc_u32 s7, s7, 0
	s_mov_b32 s24, 0
	v_add_co_u32_e32 v2, vcc, v46, v2
	s_mul_i32 s7, s7, s70
	s_mul_hi_u32 s8, s6, s70
	s_mov_b32 s25, s24
	v_addc_co_u32_e32 v3, vcc, v47, v0, vcc
	s_add_i32 s30, s8, s7
	s_mul_i32 s31, s6, s70
	s_lshl_b32 s33, s71, 3
	s_mov_b32 s46, s24
	s_mov_b64 s[8:9], 0
	v_pk_mov_b32 v[4:5], v[42:43], v[42:43] op_sel:[0,1]
                                        ; implicit-def: $sgpr6_sgpr7
                                        ; implicit-def: $sgpr10_sgpr11
	s_branch .LBB5_96
.LBB5_95:                               ;   in Loop: Header=BB5_96 Depth=1
	s_or_b64 exec, exec, s[12:13]
	s_and_b64 s[12:13], exec, s[14:15]
	s_or_b64 s[8:9], s[12:13], s[8:9]
	s_andn2_b64 s[6:7], s[6:7], exec
	s_and_b64 s[12:13], s[10:11], exec
	s_or_b64 s[6:7], s[6:7], s[12:13]
	s_andn2_b64 exec, exec, s[8:9]
	s_cbranch_execz .LBB5_116
.LBB5_96:                               ; =>This Loop Header: Depth=1
                                        ;     Child Loop BB5_99 Depth 2
	v_add_co_u32_e32 v6, vcc, v4, v44
	v_addc_co_u32_e32 v7, vcc, 0, v5, vcc
	v_cmp_gt_i64_e32 vcc, s[36:37], v[6:7]
	s_mov_b64 s[16:17], -1
                                        ; implicit-def: $sgpr18_sgpr19
	s_and_saveexec_b64 s[12:13], vcc
	s_cbranch_execz .LBB5_102
; %bb.97:                               ;   in Loop: Header=BB5_96 Depth=1
	v_mov_b32_e32 v0, s5
	v_sub_co_u32_e32 v8, vcc, s4, v4
	v_subb_co_u32_e32 v0, vcc, v0, v5, vcc
	v_mul_lo_u32 v0, v0, v4
	v_mul_lo_u32 v9, v8, v5
	v_mul_hi_u32 v10, v8, v4
	v_add3_u32 v0, v10, v9, v0
	v_lshrrev_b32_e32 v0, 31, v0
	v_mad_u64_u32 v[8:9], s[14:15], v8, v4, v[0:1]
	v_lshrrev_b32_e32 v0, 1, v8
	v_add_u32_e32 v0, v44, v0
	v_lshl_add_u32 v0, v0, 3, 0
	s_mov_b64 s[14:15], 0
	v_pk_mov_b32 v[8:9], v[2:3], v[2:3] op_sel:[0,1]
                                        ; implicit-def: $sgpr16_sgpr17
                                        ; implicit-def: $sgpr20_sgpr21
                                        ; implicit-def: $sgpr18_sgpr19
	s_branch .LBB5_99
.LBB5_98:                               ;   in Loop: Header=BB5_99 Depth=2
	s_or_b64 exec, exec, s[22:23]
	s_xor_b64 s[22:23], s[18:19], -1
	s_and_b64 s[58:59], exec, s[20:21]
	s_or_b64 s[14:15], s[58:59], s[14:15]
	s_andn2_b64 s[16:17], s[16:17], exec
	s_and_b64 s[22:23], s[22:23], exec
	s_or_b64 s[16:17], s[16:17], s[22:23]
	s_andn2_b64 exec, exec, s[14:15]
	s_cbranch_execz .LBB5_101
.LBB5_99:                               ;   Parent Loop BB5_96 Depth=1
                                        ; =>  This Inner Loop Header: Depth=2
	v_cmp_ge_u64_e32 vcc, v[6:7], v[4:5]
	s_or_b64 s[18:19], s[18:19], exec
	s_or_b64 s[20:21], s[20:21], exec
	s_and_saveexec_b64 s[22:23], vcc
	s_cbranch_execz .LBB5_98
; %bb.100:                              ;   in Loop: Header=BB5_99 Depth=2
	ds_read_b64 v[10:11], v0
	v_mov_b32_e32 v12, s24
	v_add_co_u32_e32 v6, vcc, s71, v6
	v_addc_co_u32_e32 v7, vcc, v7, v12, vcc
	s_waitcnt lgkmcnt(0)
	flat_store_dwordx2 v[8:9], v[10:11]
	v_mov_b32_e32 v10, s46
	v_add_co_u32_e32 v8, vcc, s33, v8
	v_addc_co_u32_e32 v9, vcc, v9, v10, vcc
	v_cmp_le_i64_e32 vcc, s[36:37], v[6:7]
	s_andn2_b64 s[20:21], s[20:21], exec
	s_and_b64 s[58:59], vcc, exec
	v_add_u32_e32 v0, s33, v0
	s_andn2_b64 s[18:19], s[18:19], exec
	s_or_b64 s[20:21], s[20:21], s[58:59]
	s_branch .LBB5_98
.LBB5_101:                              ;   in Loop: Header=BB5_96 Depth=1
	s_or_b64 exec, exec, s[14:15]
	s_mov_b64 s[18:19], -1
	s_orn2_b64 s[16:17], s[16:17], exec
.LBB5_102:                              ;   in Loop: Header=BB5_96 Depth=1
	s_or_b64 exec, exec, s[12:13]
	s_andn2_b64 s[10:11], s[10:11], exec
	s_and_b64 s[12:13], s[18:19], exec
	s_mov_b64 s[14:15], -1
	s_or_b64 s[10:11], s[10:11], s[12:13]
	s_and_saveexec_b64 s[12:13], s[16:17]
	s_cbranch_execz .LBB5_95
; %bb.103:                              ;   in Loop: Header=BB5_96 Depth=1
	v_mov_b32_e32 v0, s25
	v_add_co_u32_e32 v4, vcc, s70, v4
	v_addc_co_u32_e32 v5, vcc, v5, v0, vcc
	v_mov_b32_e32 v0, s30
	v_add_co_u32_e32 v2, vcc, s31, v2
	v_addc_co_u32_e32 v3, vcc, v3, v0, vcc
	v_cmp_le_i64_e32 vcc, s[36:37], v[4:5]
	s_andn2_b64 s[10:11], s[10:11], exec
	s_orn2_b64 s[14:15], vcc, exec
	s_branch .LBB5_95
.LBB5_104:
	s_and_b64 vcc, exec, s[4:5]
	s_cbranch_vccz .LBB5_120
; %bb.105:
	s_mov_b64 s[6:7], -1
	s_mov_b64 s[54:55], 0
	s_and_saveexec_b64 s[4:5], s[28:29]
	s_cbranch_execz .LBB5_123
; %bb.106:
	s_lshl_b64 s[6:7], s[36:37], 1
	v_mov_b32_e32 v0, s7
	v_sub_co_u32_e32 v2, vcc, s6, v44
	v_subbrev_co_u32_e32 v0, vcc, 0, v0, vcc
	v_add_co_u32_e32 v2, vcc, 1, v2
	v_mad_u64_u32 v[4:5], s[6:7], s42, v42, 0
	v_mov_b32_e32 v1, 0
	v_addc_co_u32_e32 v3, vcc, 0, v0, vcc
	v_mov_b32_e32 v0, v5
	v_mad_u64_u32 v[6:7], s[6:7], s43, v42, v[0:1]
	v_mov_b32_e32 v5, v6
	v_lshlrev_b64 v[4:5], 3, v[4:5]
	s_lshl_b64 s[6:7], s[40:41], 3
	v_mov_b32_e32 v0, s7
	v_add_co_u32_e32 v4, vcc, s6, v4
	v_addc_co_u32_e32 v0, vcc, v5, v0, vcc
	v_lshlrev_b32_e32 v5, 3, v44
	v_add_co_u32_e32 v4, vcc, v4, v5
	v_addc_co_u32_e32 v0, vcc, 0, v0, vcc
	s_mul_i32 s6, s43, s70
	s_mul_hi_u32 s7, s42, s70
	s_mov_b32 s24, 0
	v_add_co_u32_e32 v4, vcc, v46, v4
	s_add_i32 s7, s7, s6
	s_mul_i32 s6, s42, s70
	v_mov_b32_e32 v45, v1
	s_mov_b32 s25, s24
	v_sub_u32_e32 v12, v42, v44
	v_addc_co_u32_e32 v5, vcc, v47, v0, vcc
	s_lshl_b64 s[6:7], s[6:7], 3
	s_lshl_b32 s28, s71, 3
	s_mov_b32 s29, s24
	s_mov_b64 s[8:9], 0
                                        ; implicit-def: $sgpr10_sgpr11
	s_branch .LBB5_108
.LBB5_107:                              ;   in Loop: Header=BB5_108 Depth=1
	s_or_b64 exec, exec, s[12:13]
	s_xor_b64 s[12:13], s[14:15], -1
	s_and_b64 s[14:15], exec, s[16:17]
	s_or_b64 s[8:9], s[14:15], s[8:9]
	s_andn2_b64 s[10:11], s[10:11], exec
	s_and_b64 s[12:13], s[12:13], exec
	s_or_b64 s[10:11], s[10:11], s[12:13]
	s_andn2_b64 exec, exec, s[8:9]
	s_cbranch_execz .LBB5_122
.LBB5_108:                              ; =>This Loop Header: Depth=1
                                        ;     Child Loop BB5_111 Depth 2
	v_cmp_ge_u64_e32 vcc, v[42:43], v[44:45]
	s_mov_b64 s[18:19], -1
                                        ; implicit-def: $sgpr14_sgpr15
	s_and_saveexec_b64 s[12:13], vcc
	s_cbranch_execz .LBB5_114
; %bb.109:                              ;   in Loop: Header=BB5_108 Depth=1
	s_mov_b64 s[14:15], 0
	v_pk_mov_b32 v[6:7], v[4:5], v[4:5] op_sel:[0,1]
	v_mov_b32_e32 v13, v12
	v_pk_mov_b32 v[8:9], v[2:3], v[2:3] op_sel:[0,1]
	v_pk_mov_b32 v[10:11], v[44:45], v[44:45] op_sel:[0,1]
                                        ; implicit-def: $sgpr16_sgpr17
                                        ; implicit-def: $sgpr20_sgpr21
                                        ; implicit-def: $sgpr18_sgpr19
	s_branch .LBB5_111
.LBB5_110:                              ;   in Loop: Header=BB5_111 Depth=2
	s_or_b64 exec, exec, s[22:23]
	s_xor_b64 s[22:23], s[18:19], -1
	s_and_b64 s[30:31], exec, s[20:21]
	s_or_b64 s[14:15], s[30:31], s[14:15]
	s_andn2_b64 s[16:17], s[16:17], exec
	s_and_b64 s[22:23], s[22:23], exec
	s_or_b64 s[16:17], s[16:17], s[22:23]
	s_andn2_b64 exec, exec, s[14:15]
	s_cbranch_execz .LBB5_113
.LBB5_111:                              ;   Parent Loop BB5_108 Depth=1
                                        ; =>  This Inner Loop Header: Depth=2
	v_cmp_gt_i64_e32 vcc, s[36:37], v[10:11]
	s_or_b64 s[18:19], s[18:19], exec
	s_or_b64 s[20:21], s[20:21], exec
	s_and_saveexec_b64 s[22:23], vcc
	s_cbranch_execz .LBB5_110
; %bb.112:                              ;   in Loop: Header=BB5_111 Depth=2
	v_mul_lo_u32 v0, v9, v10
	v_mul_lo_u32 v14, v8, v11
	v_mul_hi_u32 v15, v8, v10
	v_add3_u32 v0, v15, v14, v0
	v_lshrrev_b32_e32 v0, 31, v0
	v_mad_u64_u32 v[14:15], s[30:31], v8, v10, v[0:1]
	v_lshrrev_b32_e32 v0, 1, v14
	v_add_u32_e32 v0, v13, v0
	v_lshl_add_u32 v0, v0, 3, 0
	ds_read_b64 v[14:15], v0
	v_mov_b32_e32 v0, s24
	v_add_co_u32_e32 v10, vcc, s71, v10
	v_addc_co_u32_e32 v11, vcc, v11, v0, vcc
	v_subrev_co_u32_e32 v8, vcc, s71, v8
	v_subb_co_u32_e32 v9, vcc, v9, v0, vcc
	s_waitcnt lgkmcnt(0)
	flat_store_dwordx2 v[6:7], v[14:15]
	v_mov_b32_e32 v0, s29
	v_add_co_u32_e32 v6, vcc, s28, v6
	v_addc_co_u32_e32 v7, vcc, v7, v0, vcc
	v_cmp_gt_u64_e32 vcc, v[10:11], v[42:43]
	s_andn2_b64 s[20:21], s[20:21], exec
	s_and_b64 s[30:31], vcc, exec
	v_subrev_u32_e32 v13, s71, v13
	s_andn2_b64 s[18:19], s[18:19], exec
	s_or_b64 s[20:21], s[20:21], s[30:31]
	s_branch .LBB5_110
.LBB5_113:                              ;   in Loop: Header=BB5_108 Depth=1
	s_or_b64 exec, exec, s[14:15]
	s_mov_b64 s[14:15], -1
	s_orn2_b64 s[18:19], s[16:17], exec
.LBB5_114:                              ;   in Loop: Header=BB5_108 Depth=1
	s_or_b64 exec, exec, s[12:13]
	s_mov_b64 s[16:17], -1
	s_and_saveexec_b64 s[12:13], s[18:19]
	s_cbranch_execz .LBB5_107
; %bb.115:                              ;   in Loop: Header=BB5_108 Depth=1
	v_mov_b32_e32 v0, s25
	v_add_co_u32_e32 v42, vcc, s70, v42
	v_addc_co_u32_e32 v43, vcc, v43, v0, vcc
	v_mov_b32_e32 v0, s7
	v_add_co_u32_e32 v4, vcc, s6, v4
	v_addc_co_u32_e32 v5, vcc, v5, v0, vcc
	v_cmp_le_i64_e32 vcc, s[36:37], v[42:43]
	v_add_u32_e32 v12, s70, v12
	s_andn2_b64 s[14:15], s[14:15], exec
	s_orn2_b64 s[16:17], vcc, exec
	s_branch .LBB5_107
.LBB5_116:
	s_or_b64 exec, exec, s[8:9]
	s_mov_b64 s[4:5], -1
	s_mov_b64 s[8:9], s[34:35]
	s_and_saveexec_b64 s[10:11], s[6:7]
	s_xor_b64 s[46:47], exec, s[10:11]
	s_cbranch_execz .LBB5_118
; %bb.117:
	s_add_u32 s8, s26, 56
	s_addc_u32 s9, s27, 0
	s_getpc_b64 s[4:5]
	s_add_u32 s4, s4, .str.8@rel32@lo+4
	s_addc_u32 s5, s5, .str.8@rel32@hi+12
	s_getpc_b64 s[6:7]
	s_add_u32 s6, s6, __PRETTY_FUNCTION__._ZN9rocsolver6v33100L9idx_lowerIlEET_S2_S2_S2_@rel32@lo+4
	s_addc_u32 s7, s7, __PRETTY_FUNCTION__._ZN9rocsolver6v33100L9idx_lowerIlEET_S2_S2_S2_@rel32@hi+12
	v_mov_b32_e32 v0, s4
	v_mov_b32_e32 v1, s5
	;; [unrolled: 1-line block ×5, first 2 shown]
	s_getpc_b64 s[10:11]
	s_add_u32 s10, s10, __assert_fail@rel32@lo+4
	s_addc_u32 s11, s11, __assert_fail@rel32@hi+12
	s_swappc_b64 s[30:31], s[10:11]
	s_or_b64 s[8:9], s[34:35], exec
	s_xor_b64 s[4:5], exec, -1
.LBB5_118:
	s_or_b64 exec, exec, s[46:47]
	s_andn2_b64 s[6:7], s[34:35], exec
	s_and_b64 s[8:9], s[8:9], exec
	s_or_b64 s[46:47], s[6:7], s[8:9]
	s_orn2_b64 s[6:7], s[4:5], exec
.LBB5_119:
	s_or_b64 exec, exec, s[56:57]
.LBB5_120:
	s_and_saveexec_b64 s[4:5], s[6:7]
	s_cbranch_execz .LBB5_124
.LBB5_121:
	s_waitcnt lgkmcnt(0)
	s_barrier
	s_andn2_b64 s[54:55], s[54:55], exec
	s_or_b64 exec, exec, s[4:5]
	s_and_saveexec_b64 s[4:5], s[54:55]
	s_xor_b64 s[28:29], exec, s[4:5]
	s_cbranch_execnz .LBB5_125
	s_branch .LBB5_126
.LBB5_122:
	s_or_b64 exec, exec, s[8:9]
	s_mov_b64 s[54:55], exec
	s_orn2_b64 s[6:7], s[10:11], exec
.LBB5_123:
	s_or_b64 exec, exec, s[4:5]
	s_and_saveexec_b64 s[4:5], s[6:7]
	s_cbranch_execnz .LBB5_121
.LBB5_124:
	s_or_b64 exec, exec, s[4:5]
	s_and_saveexec_b64 s[4:5], s[54:55]
	s_xor_b64 s[28:29], exec, s[4:5]
	s_cbranch_execz .LBB5_126
.LBB5_125:
	s_add_u32 s8, s26, 56
	s_addc_u32 s9, s27, 0
	s_getpc_b64 s[4:5]
	s_add_u32 s4, s4, .str.7@rel32@lo+4
	s_addc_u32 s5, s5, .str.7@rel32@hi+12
	s_getpc_b64 s[6:7]
	s_add_u32 s6, s6, __PRETTY_FUNCTION__._ZN9rocsolver6v33100L9idx_lowerIlEET_S2_S2_S2_@rel32@lo+4
	s_addc_u32 s7, s7, __PRETTY_FUNCTION__._ZN9rocsolver6v33100L9idx_lowerIlEET_S2_S2_S2_@rel32@hi+12
	v_mov_b32_e32 v0, s4
	v_mov_b32_e32 v1, s5
	;; [unrolled: 1-line block ×5, first 2 shown]
	s_getpc_b64 s[10:11]
	s_add_u32 s10, s10, __assert_fail@rel32@lo+4
	s_addc_u32 s11, s11, __assert_fail@rel32@hi+12
	s_swappc_b64 s[30:31], s[10:11]
	s_or_b64 s[46:47], s[46:47], exec
.LBB5_126:
	s_or_b64 exec, exec, s[28:29]
	s_andn2_b64 s[4:5], s[34:35], exec
	s_and_b64 s[6:7], s[46:47], exec
	s_or_b64 s[54:55], s[4:5], s[6:7]
	s_andn2_b64 s[50:51], s[50:51], exec
.LBB5_127:
	s_or_b64 exec, exec, s[52:53]
	s_and_saveexec_b64 s[4:5], s[50:51]
	s_xor_b64 s[28:29], exec, s[4:5]
	s_cbranch_execz .LBB5_129
; %bb.128:
	s_add_u32 s8, s26, 56
	s_addc_u32 s9, s27, 0
	s_getpc_b64 s[4:5]
	s_add_u32 s4, s4, .str.8@rel32@lo+4
	s_addc_u32 s5, s5, .str.8@rel32@hi+12
	s_getpc_b64 s[6:7]
	s_add_u32 s6, s6, __PRETTY_FUNCTION__._ZN9rocsolver6v33100L9idx_lowerIlEET_S2_S2_S2_@rel32@lo+4
	s_addc_u32 s7, s7, __PRETTY_FUNCTION__._ZN9rocsolver6v33100L9idx_lowerIlEET_S2_S2_S2_@rel32@hi+12
	v_mov_b32_e32 v0, s4
	v_mov_b32_e32 v1, s5
	;; [unrolled: 1-line block ×5, first 2 shown]
	s_getpc_b64 s[10:11]
	s_add_u32 s10, s10, __assert_fail@rel32@lo+4
	s_addc_u32 s11, s11, __assert_fail@rel32@hi+12
	s_swappc_b64 s[30:31], s[10:11]
	s_or_b64 s[54:55], s[54:55], exec
	s_or_b64 exec, exec, s[28:29]
	s_and_saveexec_b64 s[4:5], s[48:49]
	s_xor_b64 s[28:29], exec, s[4:5]
	s_cbranch_execnz .LBB5_130
	s_branch .LBB5_131
.LBB5_129:
	s_or_b64 exec, exec, s[28:29]
	s_and_saveexec_b64 s[4:5], s[48:49]
	s_xor_b64 s[28:29], exec, s[4:5]
	s_cbranch_execz .LBB5_131
.LBB5_130:
	s_add_u32 s8, s26, 56
	s_addc_u32 s9, s27, 0
	s_getpc_b64 s[4:5]
	s_add_u32 s4, s4, .str.8@rel32@lo+4
	s_addc_u32 s5, s5, .str.8@rel32@hi+12
	s_getpc_b64 s[6:7]
	s_add_u32 s6, s6, __PRETTY_FUNCTION__._ZN9rocsolver6v33100L9idx_lowerIlEET_S2_S2_S2_@rel32@lo+4
	s_addc_u32 s7, s7, __PRETTY_FUNCTION__._ZN9rocsolver6v33100L9idx_lowerIlEET_S2_S2_S2_@rel32@hi+12
	v_mov_b32_e32 v0, s4
	v_mov_b32_e32 v1, s5
	;; [unrolled: 1-line block ×5, first 2 shown]
	s_getpc_b64 s[10:11]
	s_add_u32 s10, s10, __assert_fail@rel32@lo+4
	s_addc_u32 s11, s11, __assert_fail@rel32@hi+12
	s_swappc_b64 s[30:31], s[10:11]
	s_or_b64 s[54:55], s[54:55], exec
.LBB5_131:
	s_or_b64 exec, exec, s[28:29]
	s_andn2_b64 s[4:5], s[34:35], exec
	s_and_b64 s[6:7], s[54:55], exec
	s_or_b64 s[34:35], s[4:5], s[6:7]
	s_andn2_b64 s[38:39], s[38:39], exec
	s_or_b64 exec, exec, s[44:45]
	s_and_saveexec_b64 s[4:5], s[38:39]
	s_xor_b64 s[28:29], exec, s[4:5]
	s_cbranch_execz .LBB5_40
	s_branch .LBB5_39
	.section	.rodata,"a",@progbits
	.p2align	6, 0x0
	.amdhsa_kernel _ZN9rocsolver6v33100L18potf2_kernel_smallIdllPKPdEEvbT0_T2_lS5_lPT1_
		.amdhsa_group_segment_fixed_size 0
		.amdhsa_private_segment_fixed_size 64
		.amdhsa_kernarg_size 312
		.amdhsa_user_sgpr_count 8
		.amdhsa_user_sgpr_private_segment_buffer 1
		.amdhsa_user_sgpr_dispatch_ptr 0
		.amdhsa_user_sgpr_queue_ptr 0
		.amdhsa_user_sgpr_kernarg_segment_ptr 1
		.amdhsa_user_sgpr_dispatch_id 0
		.amdhsa_user_sgpr_flat_scratch_init 1
		.amdhsa_user_sgpr_kernarg_preload_length 0
		.amdhsa_user_sgpr_kernarg_preload_offset 0
		.amdhsa_user_sgpr_private_segment_size 0
		.amdhsa_uses_dynamic_stack 0
		.amdhsa_system_sgpr_private_segment_wavefront_offset 1
		.amdhsa_system_sgpr_workgroup_id_x 1
		.amdhsa_system_sgpr_workgroup_id_y 0
		.amdhsa_system_sgpr_workgroup_id_z 1
		.amdhsa_system_sgpr_workgroup_info 0
		.amdhsa_system_vgpr_workitem_id 2
		.amdhsa_next_free_vgpr 51
		.amdhsa_next_free_sgpr 79
		.amdhsa_accum_offset 52
		.amdhsa_reserve_vcc 1
		.amdhsa_reserve_flat_scratch 1
		.amdhsa_float_round_mode_32 0
		.amdhsa_float_round_mode_16_64 0
		.amdhsa_float_denorm_mode_32 3
		.amdhsa_float_denorm_mode_16_64 3
		.amdhsa_dx10_clamp 1
		.amdhsa_ieee_mode 1
		.amdhsa_fp16_overflow 0
		.amdhsa_tg_split 0
		.amdhsa_exception_fp_ieee_invalid_op 0
		.amdhsa_exception_fp_denorm_src 0
		.amdhsa_exception_fp_ieee_div_zero 0
		.amdhsa_exception_fp_ieee_overflow 0
		.amdhsa_exception_fp_ieee_underflow 0
		.amdhsa_exception_fp_ieee_inexact 0
		.amdhsa_exception_int_div_zero 0
	.end_amdhsa_kernel
	.section	.text._ZN9rocsolver6v33100L18potf2_kernel_smallIdllPKPdEEvbT0_T2_lS5_lPT1_,"axG",@progbits,_ZN9rocsolver6v33100L18potf2_kernel_smallIdllPKPdEEvbT0_T2_lS5_lPT1_,comdat
.Lfunc_end5:
	.size	_ZN9rocsolver6v33100L18potf2_kernel_smallIdllPKPdEEvbT0_T2_lS5_lPT1_, .Lfunc_end5-_ZN9rocsolver6v33100L18potf2_kernel_smallIdllPKPdEEvbT0_T2_lS5_lPT1_
                                        ; -- End function
	.section	.AMDGPU.csdata,"",@progbits
; Kernel info:
; codeLenInByte = 5236
; NumSgprs: 85
; NumVgprs: 51
; NumAgprs: 0
; TotalNumVgprs: 51
; ScratchSize: 64
; MemoryBound: 1
; FloatMode: 240
; IeeeMode: 1
; LDSByteSize: 0 bytes/workgroup (compile time only)
; SGPRBlocks: 10
; VGPRBlocks: 6
; NumSGPRsForWavesPerEU: 85
; NumVGPRsForWavesPerEU: 51
; AccumOffset: 52
; Occupancy: 8
; WaveLimiterHint : 1
; COMPUTE_PGM_RSRC2:SCRATCH_EN: 1
; COMPUTE_PGM_RSRC2:USER_SGPR: 8
; COMPUTE_PGM_RSRC2:TRAP_HANDLER: 0
; COMPUTE_PGM_RSRC2:TGID_X_EN: 1
; COMPUTE_PGM_RSRC2:TGID_Y_EN: 0
; COMPUTE_PGM_RSRC2:TGID_Z_EN: 1
; COMPUTE_PGM_RSRC2:TIDIG_COMP_CNT: 2
; COMPUTE_PGM_RSRC3_GFX90A:ACCUM_OFFSET: 12
; COMPUTE_PGM_RSRC3_GFX90A:TG_SPLIT: 0
	.section	.text._ZN9rocsolver6v33100L18potf2_kernel_smallIdliPdEEvbT0_T2_lS3_lPT1_,"axG",@progbits,_ZN9rocsolver6v33100L18potf2_kernel_smallIdliPdEEvbT0_T2_lS3_lPT1_,comdat
	.globl	_ZN9rocsolver6v33100L18potf2_kernel_smallIdliPdEEvbT0_T2_lS3_lPT1_ ; -- Begin function _ZN9rocsolver6v33100L18potf2_kernel_smallIdliPdEEvbT0_T2_lS3_lPT1_
	.p2align	8
	.type	_ZN9rocsolver6v33100L18potf2_kernel_smallIdliPdEEvbT0_T2_lS3_lPT1_,@function
_ZN9rocsolver6v33100L18potf2_kernel_smallIdliPdEEvbT0_T2_lS3_lPT1_: ; @_ZN9rocsolver6v33100L18potf2_kernel_smallIdliPdEEvbT0_T2_lS3_lPT1_
; %bb.0:
	s_load_dwordx2 s[28:29], s[4:5], 0x44
	s_add_u32 flat_scratch_lo, s6, s10
	s_addc_u32 flat_scratch_hi, s7, 0
	s_add_u32 s0, s0, s10
	s_mov_b64 s[26:27], s[4:5]
	s_waitcnt lgkmcnt(0)
	v_cmp_eq_u16_e64 s[4:5], s29, 1
	s_addc_u32 s1, s1, 0
	s_mov_b32 s50, s9
	v_mov_b32_e32 v41, v0
	s_and_b64 vcc, exec, s[4:5]
	s_mov_b32 s32, 0
	s_cbranch_vccnz .LBB6_2
; %bb.1:
	s_add_u32 s8, s26, 56
	s_addc_u32 s9, s27, 0
	s_getpc_b64 s[4:5]
	s_add_u32 s4, s4, .str@rel32@lo+4
	s_addc_u32 s5, s5, .str@rel32@hi+12
	s_getpc_b64 s[6:7]
	s_add_u32 s6, s6, __PRETTY_FUNCTION__._ZN9rocsolver6v33100L18potf2_kernel_smallIdliPdEEvbT0_T2_lS3_lPT1_@rel32@lo+4
	s_addc_u32 s7, s7, __PRETTY_FUNCTION__._ZN9rocsolver6v33100L18potf2_kernel_smallIdliPdEEvbT0_T2_lS3_lPT1_@rel32@hi+12
	v_mov_b32_e32 v0, s4
	v_mov_b32_e32 v1, s5
	;; [unrolled: 1-line block ×5, first 2 shown]
	s_getpc_b64 s[10:11]
	s_add_u32 s10, s10, __assert_fail@rel32@lo+4
	s_addc_u32 s11, s11, __assert_fail@rel32@hi+12
	s_swappc_b64 s[30:31], s[10:11]
	s_mov_b64 s[34:35], -1
	s_cbranch_execz .LBB6_3
	s_branch .LBB6_125
.LBB6_2:
	s_mov_b64 s[34:35], 0
.LBB6_3:
	s_load_dwordx8 s[36:43], s[26:27], 0x8
	s_waitcnt lgkmcnt(0)
	s_cmp_lg_u64 s[38:39], 0
	s_cbranch_scc0 .LBB6_17
; %bb.4:
	s_load_dwordx4 s[44:47], s[26:27], 0x28
	s_waitcnt lgkmcnt(0)
	s_cmp_lg_u64 s[46:47], 0
	s_cbranch_scc0 .LBB6_18
; %bb.5:
	s_load_dword s6, s[26:27], 0x0
	v_bfe_u32 v44, v41, 10, 10
	v_mov_b32_e32 v45, 0
	s_mov_b64 s[4:5], -1
	v_and_b32_e32 v42, 0x3ff, v41
	s_waitcnt lgkmcnt(0)
	s_bitcmp1_b32 s6, 0
	s_cselect_b64 s[6:7], -1, 0
	s_xor_b64 s[54:55], s[6:7], -1
	s_lshr_b32 s76, s28, 16
	s_and_b32 s77, s28, 0xffff
	s_mov_b32 s51, 0
	v_cmp_gt_i64_e64 s[28:29], s[36:37], v[44:45]
	s_mov_b64 s[48:49], 0
	s_and_b64 vcc, exec, s[54:55]
	s_barrier
	s_cbranch_vccz .LBB6_19
; %bb.6:
	s_mov_b64 s[6:7], -1
	s_and_saveexec_b64 s[52:53], s[28:29]
	s_cbranch_execz .LBB6_23
; %bb.7:
	v_mad_u64_u32 v[2:3], s[8:9], s42, v44, 0
	v_mov_b32_e32 v1, 0
	s_mul_i32 s6, s45, s50
	s_mul_hi_u32 s7, s44, s50
	v_mov_b32_e32 v0, v3
	s_lshl_b64 s[4:5], s[36:37], 1
	s_add_i32 s7, s7, s6
	s_mul_i32 s6, s44, s50
	v_mad_u64_u32 v[4:5], s[8:9], s43, v44, v[0:1]
	s_or_b32 s4, s4, 1
	s_lshl_b64 s[6:7], s[6:7], 3
	s_lshl_b64 s[8:9], s[40:41], 3
	v_mov_b32_e32 v3, v4
	s_add_u32 s6, s8, s6
	v_lshlrev_b64 v[2:3], 3, v[2:3]
	s_addc_u32 s7, s9, s7
	v_mov_b32_e32 v0, s7
	v_add_co_u32_e32 v2, vcc, s6, v2
	v_addc_co_u32_e32 v0, vcc, v0, v3, vcc
	v_add_lshl_u32 v3, v44, v42, 3
	s_lshl_b64 s[6:7], s[42:43], 3
	v_add_co_u32_e32 v2, vcc, v2, v3
	s_add_u32 s6, s6, 8
	v_addc_co_u32_e32 v0, vcc, 0, v0, vcc
	s_addc_u32 s7, s7, 0
	s_mov_b32 s24, 0
	v_mov_b32_e32 v3, s39
	v_add_co_u32_e32 v2, vcc, s38, v2
	s_mul_i32 s7, s7, s76
	s_mul_hi_u32 s8, s6, s76
	s_mov_b32 s25, s24
	v_addc_co_u32_e32 v3, vcc, v3, v0, vcc
	s_add_i32 s30, s8, s7
	s_mul_i32 s31, s6, s76
	s_lshl_b32 s33, s77, 3
	s_mov_b32 s56, s24
	s_mov_b64 s[8:9], 0
	v_pk_mov_b32 v[4:5], v[44:45], v[44:45] op_sel:[0,1]
                                        ; implicit-def: $sgpr6_sgpr7
                                        ; implicit-def: $sgpr10_sgpr11
	s_branch .LBB6_9
.LBB6_8:                                ;   in Loop: Header=BB6_9 Depth=1
	s_or_b64 exec, exec, s[12:13]
	s_and_b64 s[12:13], exec, s[14:15]
	s_or_b64 s[8:9], s[12:13], s[8:9]
	s_andn2_b64 s[6:7], s[6:7], exec
	s_and_b64 s[12:13], s[10:11], exec
	s_or_b64 s[6:7], s[6:7], s[12:13]
	s_andn2_b64 exec, exec, s[8:9]
	s_cbranch_execz .LBB6_20
.LBB6_9:                                ; =>This Loop Header: Depth=1
                                        ;     Child Loop BB6_12 Depth 2
	v_add_co_u32_e32 v6, vcc, v4, v42
	v_addc_co_u32_e32 v7, vcc, 0, v5, vcc
	v_cmp_gt_i64_e32 vcc, s[36:37], v[6:7]
	s_mov_b64 s[16:17], -1
                                        ; implicit-def: $sgpr18_sgpr19
	s_and_saveexec_b64 s[12:13], vcc
	s_cbranch_execz .LBB6_15
; %bb.10:                               ;   in Loop: Header=BB6_9 Depth=1
	v_mov_b32_e32 v0, s5
	v_sub_co_u32_e32 v8, vcc, s4, v4
	v_subb_co_u32_e32 v0, vcc, v0, v5, vcc
	v_mul_lo_u32 v0, v0, v4
	v_mul_lo_u32 v9, v8, v5
	v_mul_hi_u32 v10, v8, v4
	v_add3_u32 v0, v10, v9, v0
	v_lshrrev_b32_e32 v0, 31, v0
	v_mad_u64_u32 v[8:9], s[14:15], v8, v4, v[0:1]
	v_lshrrev_b32_e32 v0, 1, v8
	v_add_u32_e32 v0, v42, v0
	v_lshl_add_u32 v0, v0, 3, 0
	s_mov_b64 s[14:15], 0
	v_pk_mov_b32 v[8:9], v[2:3], v[2:3] op_sel:[0,1]
                                        ; implicit-def: $sgpr16_sgpr17
                                        ; implicit-def: $sgpr20_sgpr21
                                        ; implicit-def: $sgpr18_sgpr19
	s_branch .LBB6_12
.LBB6_11:                               ;   in Loop: Header=BB6_12 Depth=2
	s_or_b64 exec, exec, s[22:23]
	s_xor_b64 s[22:23], s[18:19], -1
	s_and_b64 s[58:59], exec, s[20:21]
	s_or_b64 s[14:15], s[58:59], s[14:15]
	s_andn2_b64 s[16:17], s[16:17], exec
	s_and_b64 s[22:23], s[22:23], exec
	s_or_b64 s[16:17], s[16:17], s[22:23]
	s_andn2_b64 exec, exec, s[14:15]
	s_cbranch_execz .LBB6_14
.LBB6_12:                               ;   Parent Loop BB6_9 Depth=1
                                        ; =>  This Inner Loop Header: Depth=2
	v_cmp_ge_u64_e32 vcc, v[6:7], v[4:5]
	s_or_b64 s[18:19], s[18:19], exec
	s_or_b64 s[20:21], s[20:21], exec
	s_and_saveexec_b64 s[22:23], vcc
	s_cbranch_execz .LBB6_11
; %bb.13:                               ;   in Loop: Header=BB6_12 Depth=2
	global_load_dwordx2 v[10:11], v[8:9], off
	v_mov_b32_e32 v12, s24
	v_add_co_u32_e32 v6, vcc, s77, v6
	v_addc_co_u32_e32 v7, vcc, v7, v12, vcc
	v_mov_b32_e32 v13, s56
	v_add_co_u32_e32 v8, vcc, s33, v8
	v_addc_co_u32_e32 v9, vcc, v9, v13, vcc
	v_cmp_le_i64_e32 vcc, s[36:37], v[6:7]
	s_andn2_b64 s[20:21], s[20:21], exec
	s_and_b64 s[58:59], vcc, exec
	s_andn2_b64 s[18:19], s[18:19], exec
	s_or_b64 s[20:21], s[20:21], s[58:59]
	s_waitcnt vmcnt(0)
	ds_write_b64 v0, v[10:11]
	v_add_u32_e32 v0, s33, v0
	s_branch .LBB6_11
.LBB6_14:                               ;   in Loop: Header=BB6_9 Depth=1
	s_or_b64 exec, exec, s[14:15]
	s_mov_b64 s[18:19], -1
	s_orn2_b64 s[16:17], s[16:17], exec
.LBB6_15:                               ;   in Loop: Header=BB6_9 Depth=1
	s_or_b64 exec, exec, s[12:13]
	s_andn2_b64 s[10:11], s[10:11], exec
	s_and_b64 s[12:13], s[18:19], exec
	s_mov_b64 s[14:15], -1
	s_or_b64 s[10:11], s[10:11], s[12:13]
	s_and_saveexec_b64 s[12:13], s[16:17]
	s_cbranch_execz .LBB6_8
; %bb.16:                               ;   in Loop: Header=BB6_9 Depth=1
	v_mov_b32_e32 v0, s25
	v_add_co_u32_e32 v4, vcc, s76, v4
	v_addc_co_u32_e32 v5, vcc, v5, v0, vcc
	v_mov_b32_e32 v0, s30
	v_add_co_u32_e32 v2, vcc, s31, v2
	v_addc_co_u32_e32 v3, vcc, v3, v0, vcc
	v_cmp_le_i64_e32 vcc, s[36:37], v[4:5]
	s_andn2_b64 s[10:11], s[10:11], exec
	s_orn2_b64 s[14:15], vcc, exec
	s_branch .LBB6_8
.LBB6_17:
	s_cbranch_execnz .LBB6_124
	s_branch .LBB6_125
.LBB6_18:
	s_cbranch_execnz .LBB6_122
	s_branch .LBB6_123
.LBB6_19:
	s_mov_b64 s[6:7], 0
	s_and_b64 vcc, exec, s[4:5]
	s_cbranch_vccnz .LBB6_24
	s_branch .LBB6_37
.LBB6_20:
	s_or_b64 exec, exec, s[8:9]
	s_mov_b64 s[4:5], -1
	s_mov_b64 s[8:9], s[34:35]
	s_and_saveexec_b64 s[10:11], s[6:7]
	s_xor_b64 s[56:57], exec, s[10:11]
	s_cbranch_execz .LBB6_22
; %bb.21:
	s_add_u32 s8, s26, 56
	s_addc_u32 s9, s27, 0
	s_getpc_b64 s[4:5]
	s_add_u32 s4, s4, .str.8@rel32@lo+4
	s_addc_u32 s5, s5, .str.8@rel32@hi+12
	s_getpc_b64 s[6:7]
	s_add_u32 s6, s6, __PRETTY_FUNCTION__._ZN9rocsolver6v33100L9idx_lowerIlEET_S2_S2_S2_@rel32@lo+4
	s_addc_u32 s7, s7, __PRETTY_FUNCTION__._ZN9rocsolver6v33100L9idx_lowerIlEET_S2_S2_S2_@rel32@hi+12
	v_mov_b32_e32 v0, s4
	v_mov_b32_e32 v1, s5
	;; [unrolled: 1-line block ×5, first 2 shown]
	s_getpc_b64 s[10:11]
	s_add_u32 s10, s10, __assert_fail@rel32@lo+4
	s_addc_u32 s11, s11, __assert_fail@rel32@hi+12
	s_swappc_b64 s[30:31], s[10:11]
	s_or_b64 s[8:9], s[34:35], exec
	s_xor_b64 s[4:5], exec, -1
.LBB6_22:
	s_or_b64 exec, exec, s[56:57]
	s_andn2_b64 s[6:7], s[34:35], exec
	s_and_b64 s[8:9], s[8:9], exec
	s_or_b64 s[34:35], s[6:7], s[8:9]
	s_orn2_b64 s[6:7], s[4:5], exec
.LBB6_23:
	s_or_b64 exec, exec, s[52:53]
	s_branch .LBB6_37
.LBB6_24:
	s_mov_b64 s[6:7], -1
	s_mov_b64 s[48:49], 0
	s_and_saveexec_b64 s[4:5], s[28:29]
	s_cbranch_execz .LBB6_36
; %bb.25:
	s_lshl_b64 s[6:7], s[36:37], 1
	v_mov_b32_e32 v0, s7
	v_sub_co_u32_e32 v2, vcc, s6, v42
	v_subbrev_co_u32_e32 v0, vcc, 0, v0, vcc
	v_add_co_u32_e32 v2, vcc, 1, v2
	v_mad_u64_u32 v[4:5], s[8:9], s42, v44, 0
	v_mov_b32_e32 v1, 0
	v_addc_co_u32_e32 v3, vcc, 0, v0, vcc
	s_mul_i32 s6, s45, s50
	s_mul_hi_u32 s7, s44, s50
	v_mov_b32_e32 v0, v5
	s_add_i32 s7, s7, s6
	s_mul_i32 s6, s44, s50
	v_mad_u64_u32 v[6:7], s[8:9], s43, v44, v[0:1]
	s_lshl_b64 s[6:7], s[6:7], 3
	s_lshl_b64 s[8:9], s[40:41], 3
	v_mov_b32_e32 v5, v6
	s_add_u32 s6, s8, s6
	v_lshlrev_b64 v[4:5], 3, v[4:5]
	s_addc_u32 s7, s9, s7
	v_mov_b32_e32 v0, s7
	v_add_co_u32_e32 v4, vcc, s6, v4
	v_addc_co_u32_e32 v0, vcc, v0, v5, vcc
	v_lshlrev_b32_e32 v5, 3, v42
	v_add_co_u32_e32 v4, vcc, v4, v5
	v_addc_co_u32_e32 v0, vcc, 0, v0, vcc
	s_mul_i32 s6, s43, s76
	s_mul_hi_u32 s7, s42, s76
	s_mov_b32 s24, 0
	v_mov_b32_e32 v5, s39
	v_add_co_u32_e32 v4, vcc, s38, v4
	s_add_i32 s7, s7, s6
	s_mul_i32 s6, s42, s76
	v_mov_b32_e32 v43, v1
	s_mov_b32 s25, s24
	v_sub_u32_e32 v14, v44, v42
	v_addc_co_u32_e32 v5, vcc, v5, v0, vcc
	s_lshl_b64 s[6:7], s[6:7], 3
	s_lshl_b32 s30, s77, 3
	s_mov_b32 s31, s24
	s_mov_b64 s[8:9], 0
	v_pk_mov_b32 v[6:7], v[44:45], v[44:45] op_sel:[0,1]
                                        ; implicit-def: $sgpr10_sgpr11
	s_branch .LBB6_27
.LBB6_26:                               ;   in Loop: Header=BB6_27 Depth=1
	s_or_b64 exec, exec, s[12:13]
	s_xor_b64 s[12:13], s[14:15], -1
	s_and_b64 s[14:15], exec, s[16:17]
	s_or_b64 s[8:9], s[14:15], s[8:9]
	s_andn2_b64 s[10:11], s[10:11], exec
	s_and_b64 s[12:13], s[12:13], exec
	s_or_b64 s[10:11], s[10:11], s[12:13]
	s_andn2_b64 exec, exec, s[8:9]
	s_cbranch_execz .LBB6_35
.LBB6_27:                               ; =>This Loop Header: Depth=1
                                        ;     Child Loop BB6_30 Depth 2
	v_cmp_ge_u64_e32 vcc, v[6:7], v[42:43]
	s_mov_b64 s[18:19], -1
                                        ; implicit-def: $sgpr14_sgpr15
	s_and_saveexec_b64 s[12:13], vcc
	s_cbranch_execz .LBB6_33
; %bb.28:                               ;   in Loop: Header=BB6_27 Depth=1
	s_mov_b64 s[14:15], 0
	v_pk_mov_b32 v[8:9], v[4:5], v[4:5] op_sel:[0,1]
	v_mov_b32_e32 v15, v14
	v_pk_mov_b32 v[10:11], v[2:3], v[2:3] op_sel:[0,1]
	v_pk_mov_b32 v[12:13], v[42:43], v[42:43] op_sel:[0,1]
                                        ; implicit-def: $sgpr16_sgpr17
                                        ; implicit-def: $sgpr20_sgpr21
                                        ; implicit-def: $sgpr18_sgpr19
	s_branch .LBB6_30
.LBB6_29:                               ;   in Loop: Header=BB6_30 Depth=2
	s_or_b64 exec, exec, s[22:23]
	s_xor_b64 s[22:23], s[18:19], -1
	s_and_b64 s[48:49], exec, s[20:21]
	s_or_b64 s[14:15], s[48:49], s[14:15]
	s_andn2_b64 s[16:17], s[16:17], exec
	s_and_b64 s[22:23], s[22:23], exec
	s_or_b64 s[16:17], s[16:17], s[22:23]
	s_andn2_b64 exec, exec, s[14:15]
	s_cbranch_execz .LBB6_32
.LBB6_30:                               ;   Parent Loop BB6_27 Depth=1
                                        ; =>  This Inner Loop Header: Depth=2
	v_cmp_gt_i64_e32 vcc, s[36:37], v[12:13]
	s_or_b64 s[18:19], s[18:19], exec
	s_or_b64 s[20:21], s[20:21], exec
	s_and_saveexec_b64 s[22:23], vcc
	s_cbranch_execz .LBB6_29
; %bb.31:                               ;   in Loop: Header=BB6_30 Depth=2
	global_load_dwordx2 v[16:17], v[8:9], off
	v_mul_lo_u32 v0, v11, v12
	v_mul_lo_u32 v18, v10, v13
	v_mul_hi_u32 v19, v10, v12
	v_mov_b32_e32 v21, s31
	v_add3_u32 v0, v19, v18, v0
	v_add_co_u32_e32 v8, vcc, s30, v8
	v_addc_co_u32_e32 v9, vcc, v9, v21, vcc
	v_lshrrev_b32_e32 v0, 31, v0
	v_mov_b32_e32 v20, s24
	v_mad_u64_u32 v[18:19], s[48:49], v10, v12, v[0:1]
	v_add_co_u32_e32 v12, vcc, s77, v12
	v_addc_co_u32_e32 v13, vcc, v13, v20, vcc
	v_subrev_co_u32_e32 v10, vcc, s77, v10
	v_subb_co_u32_e32 v11, vcc, v11, v20, vcc
	v_lshrrev_b32_e32 v0, 1, v18
	v_cmp_gt_u64_e32 vcc, v[12:13], v[6:7]
	s_andn2_b64 s[20:21], s[20:21], exec
	v_add_u32_e32 v0, v15, v0
	s_and_b64 s[48:49], vcc, exec
	s_andn2_b64 s[18:19], s[18:19], exec
	v_subrev_u32_e32 v15, s77, v15
	v_lshl_add_u32 v0, v0, 3, 0
	s_or_b64 s[20:21], s[20:21], s[48:49]
	s_waitcnt vmcnt(0)
	ds_write_b64 v0, v[16:17]
	s_branch .LBB6_29
.LBB6_32:                               ;   in Loop: Header=BB6_27 Depth=1
	s_or_b64 exec, exec, s[14:15]
	s_mov_b64 s[14:15], -1
	s_orn2_b64 s[18:19], s[16:17], exec
.LBB6_33:                               ;   in Loop: Header=BB6_27 Depth=1
	s_or_b64 exec, exec, s[12:13]
	s_mov_b64 s[16:17], -1
	s_and_saveexec_b64 s[12:13], s[18:19]
	s_cbranch_execz .LBB6_26
; %bb.34:                               ;   in Loop: Header=BB6_27 Depth=1
	v_mov_b32_e32 v0, s25
	v_add_co_u32_e32 v6, vcc, s76, v6
	v_addc_co_u32_e32 v7, vcc, v7, v0, vcc
	v_mov_b32_e32 v0, s7
	v_add_co_u32_e32 v4, vcc, s6, v4
	v_addc_co_u32_e32 v5, vcc, v5, v0, vcc
	v_cmp_le_i64_e32 vcc, s[36:37], v[6:7]
	v_add_u32_e32 v14, s76, v14
	s_andn2_b64 s[14:15], s[14:15], exec
	s_orn2_b64 s[16:17], vcc, exec
	s_branch .LBB6_26
.LBB6_35:
	s_or_b64 exec, exec, s[8:9]
	s_mov_b64 s[48:49], exec
	s_orn2_b64 s[6:7], s[10:11], exec
.LBB6_36:
	s_or_b64 exec, exec, s[4:5]
.LBB6_37:
	s_and_saveexec_b64 s[52:53], s[6:7]
	s_cbranch_execz .LBB6_119
; %bb.38:
	v_cmp_gt_i64_e64 s[4:5], s[36:37], 0
	s_mov_b64 s[56:57], 0
	s_and_b64 vcc, exec, s[4:5]
	s_waitcnt lgkmcnt(0)
	s_barrier
	s_cbranch_vccz .LBB6_80
; %bb.39:
	s_lshl_b64 s[4:5], s[50:51], 2
	s_mul_i32 s33, s76, s77
	v_bfe_u32 v1, v41, 20, 10
	s_add_u32 s10, s46, s4
	v_mul_u32_u24_e32 v0, s77, v44
	v_mul_lo_u32 v1, s33, v1
	s_addc_u32 s11, s47, s5
	v_add3_u32 v0, v0, v42, v1
	s_lshl_b64 s[12:13], s[36:37], 1
	s_mov_b32 s51, 0
	s_mov_b32 s20, 0
	s_or_b32 s12, s12, 1
	v_cmp_eq_u32_e64 s[4:5], 0, v0
	v_mov_b32_e32 v3, 0
	s_mov_b32 s78, s51
	s_mov_b32 s79, s51
	s_lshl_b32 s80, s33, 3
	v_sub_u32_e32 v1, v42, v44
	s_lshl_b32 s81, s77, 3
	s_mov_b64 s[16:17], 0
	v_mov_b32_e32 v12, 0x180
	s_brev_b32 s21, 8
	v_mov_b32_e32 v13, 0x260
	s_mov_b64 s[8:9], 0
	s_mov_b64 s[22:23], 0
                                        ; implicit-def: $sgpr18_sgpr19
                                        ; implicit-def: $sgpr14_sgpr15
	s_branch .LBB6_42
.LBB6_40:                               ;   in Loop: Header=BB6_42 Depth=1
	s_andn2_b64 s[46:47], s[46:47], exec
	s_andn2_b64 s[30:31], s[30:31], exec
	s_orn2_b64 s[56:57], s[56:57], exec
.LBB6_41:                               ;   in Loop: Header=BB6_42 Depth=1
	s_or_b64 exec, exec, s[24:25]
	s_xor_b64 s[6:7], s[46:47], -1
	s_xor_b64 s[24:25], s[30:31], -1
	s_and_b64 s[30:31], exec, s[56:57]
	s_or_b64 s[16:17], s[30:31], s[16:17]
	s_andn2_b64 s[14:15], s[14:15], exec
	s_and_b64 s[6:7], s[6:7], exec
	s_or_b64 s[14:15], s[14:15], s[6:7]
	s_andn2_b64 s[6:7], s[18:19], exec
	s_and_b64 s[18:19], s[24:25], exec
	s_or_b64 s[18:19], s[6:7], s[18:19]
	s_andn2_b64 exec, exec, s[16:17]
	s_cbranch_execz .LBB6_75
.LBB6_42:                               ; =>This Loop Header: Depth=1
                                        ;     Child Loop BB6_53 Depth 2
                                        ;     Child Loop BB6_62 Depth 2
                                        ;       Child Loop BB6_66 Depth 3
	s_add_u32 s6, s8, s12
	s_addc_u32 s7, s9, s13
	s_mul_i32 s9, s6, s23
	s_mul_hi_u32 s24, s6, s22
	s_add_i32 s9, s24, s9
	s_mul_i32 s7, s7, s22
	s_add_i32 s9, s9, s7
	s_mul_i32 s6, s6, s22
	s_lshr_b32 s7, s9, 31
	s_add_u32 s6, s6, s7
	s_addc_u32 s7, s9, 0
	s_ashr_i64 s[56:57], s[6:7], 1
	s_lshl_b32 s6, s56, 3
	s_add_i32 s9, s6, 0
	v_mov_b32_e32 v2, s9
	ds_read_b64 v[4:5], v2
	s_mov_b64 s[24:25], 0
	s_mov_b64 s[30:31], -1
	s_waitcnt lgkmcnt(0)
	v_cmp_class_f64_e64 s[6:7], v[4:5], v12
	s_and_b64 vcc, exec, s[6:7]
	s_cbranch_vccnz .LBB6_47
; %bb.43:                               ;   in Loop: Header=BB6_42 Depth=1
	s_and_saveexec_b64 s[24:25], s[4:5]
	s_cbranch_execz .LBB6_46
; %bb.44:                               ;   in Loop: Header=BB6_42 Depth=1
	global_load_dword v2, v3, s[10:11]
	s_waitcnt vmcnt(0)
	v_cmp_ne_u32_e32 vcc, 0, v2
	s_cbranch_vccnz .LBB6_46
; %bb.45:                               ;   in Loop: Header=BB6_42 Depth=1
	s_add_i32 s30, s22, 1
	v_mov_b32_e32 v2, s30
	global_store_dword v3, v2, s[10:11]
.LBB6_46:                               ;   in Loop: Header=BB6_42 Depth=1
	s_or_b64 exec, exec, s[24:25]
	s_mov_b64 s[30:31], 0
	s_mov_b64 s[24:25], -1
.LBB6_47:                               ;   in Loop: Header=BB6_42 Depth=1
	s_andn2_b64 vcc, exec, s[30:31]
	s_cbranch_vccnz .LBB6_55
; %bb.48:                               ;   in Loop: Header=BB6_42 Depth=1
	v_cmp_gt_f64_e32 vcc, s[20:21], v[4:5]
	v_cndmask_b32_e64 v2, 0, 1, vcc
	v_lshlrev_b32_e32 v2, 8, v2
	v_ldexp_f64 v[4:5], v[4:5], v2
	v_rsq_f64_e32 v[6:7], v[4:5]
	s_and_b64 s[30:31], vcc, exec
	s_cselect_b32 s30, 0xffffff80, 0
	v_cmp_class_f64_e32 vcc, v[4:5], v13
	v_mul_f64 v[8:9], v[4:5], v[6:7]
	v_mul_f64 v[6:7], v[6:7], 0.5
	v_fma_f64 v[10:11], -v[6:7], v[8:9], 0.5
	v_fmac_f64_e32 v[8:9], v[8:9], v[10:11]
	v_fmac_f64_e32 v[6:7], v[6:7], v[10:11]
	v_fma_f64 v[10:11], -v[8:9], v[8:9], v[4:5]
	v_fmac_f64_e32 v[8:9], v[10:11], v[6:7]
	v_fma_f64 v[10:11], -v[8:9], v[8:9], v[4:5]
	v_fmac_f64_e32 v[8:9], v[10:11], v[6:7]
	v_ldexp_f64 v[6:7], v[8:9], s30
	v_cndmask_b32_e32 v5, v7, v5, vcc
	v_cndmask_b32_e32 v4, v6, v4, vcc
	s_and_saveexec_b64 s[30:31], s[4:5]
	s_cbranch_execz .LBB6_50
; %bb.49:                               ;   in Loop: Header=BB6_42 Depth=1
	v_mov_b32_e32 v2, s9
	ds_write_b64 v2, v[4:5]
.LBB6_50:                               ;   in Loop: Header=BB6_42 Depth=1
	s_or_b64 exec, exec, s[30:31]
	s_add_u32 s9, s22, 1
	s_addc_u32 s57, s23, 0
	v_mov_b32_e32 v2, s57
	v_add_co_u32_e32 v6, vcc, s9, v0
	v_addc_co_u32_e32 v7, vcc, 0, v2, vcc
	v_cmp_gt_i64_e32 vcc, s[36:37], v[6:7]
	s_mov_b64 s[60:61], -1
	s_waitcnt lgkmcnt(0)
	s_barrier
	s_waitcnt lgkmcnt(0)
                                        ; implicit-def: $sgpr46_sgpr47
                                        ; implicit-def: $sgpr30_sgpr31
	s_and_saveexec_b64 s[58:59], vcc
	s_cbranch_execz .LBB6_57
; %bb.51:                               ;   in Loop: Header=BB6_42 Depth=1
	v_add_lshl_u32 v2, v0, s56, 3
	v_add3_u32 v2, 0, 8, v2
	s_mov_b64 s[30:31], 0
                                        ; implicit-def: $sgpr60_sgpr61
                                        ; implicit-def: $sgpr62_sgpr63
                                        ; implicit-def: $sgpr46_sgpr47
	s_branch .LBB6_53
.LBB6_52:                               ;   in Loop: Header=BB6_53 Depth=2
	s_or_b64 exec, exec, s[64:65]
	s_xor_b64 s[64:65], s[46:47], -1
	s_and_b64 s[66:67], exec, s[62:63]
	s_or_b64 s[30:31], s[66:67], s[30:31]
	s_andn2_b64 s[60:61], s[60:61], exec
	s_and_b64 s[64:65], s[64:65], exec
	s_or_b64 s[60:61], s[60:61], s[64:65]
	s_andn2_b64 exec, exec, s[30:31]
	s_cbranch_execz .LBB6_56
.LBB6_53:                               ;   Parent Loop BB6_42 Depth=1
                                        ; =>  This Inner Loop Header: Depth=2
	v_cmp_le_u64_e32 vcc, s[22:23], v[6:7]
	s_or_b64 s[46:47], s[46:47], exec
	s_or_b64 s[62:63], s[62:63], exec
	s_and_saveexec_b64 s[64:65], vcc
	s_cbranch_execz .LBB6_52
; %bb.54:                               ;   in Loop: Header=BB6_53 Depth=2
	ds_read_b64 v[8:9], v2
	v_mov_b32_e32 v20, s51
	s_andn2_b64 s[62:63], s[62:63], exec
	s_andn2_b64 s[46:47], s[46:47], exec
	s_waitcnt lgkmcnt(0)
	v_div_scale_f64 v[10:11], s[66:67], v[4:5], v[4:5], v[8:9]
	v_rcp_f64_e32 v[14:15], v[10:11]
	v_div_scale_f64 v[16:17], vcc, v[8:9], v[4:5], v[8:9]
	v_fma_f64 v[18:19], -v[10:11], v[14:15], 1.0
	v_fmac_f64_e32 v[14:15], v[14:15], v[18:19]
	v_fma_f64 v[18:19], -v[10:11], v[14:15], 1.0
	v_fmac_f64_e32 v[14:15], v[14:15], v[18:19]
	v_mul_f64 v[18:19], v[16:17], v[14:15]
	v_fma_f64 v[10:11], -v[10:11], v[18:19], v[16:17]
	v_div_fmas_f64 v[10:11], v[10:11], v[14:15], v[18:19]
	v_add_co_u32_e32 v6, vcc, s33, v6
	v_addc_co_u32_e32 v7, vcc, v7, v20, vcc
	v_cmp_le_i64_e32 vcc, s[36:37], v[6:7]
	v_div_fixup_f64 v[8:9], v[10:11], v[4:5], v[8:9]
	s_and_b64 s[66:67], vcc, exec
	ds_write_b64 v2, v[8:9]
	v_add_u32_e32 v2, s80, v2
	s_or_b64 s[62:63], s[62:63], s[66:67]
	s_branch .LBB6_52
.LBB6_55:                               ;   in Loop: Header=BB6_42 Depth=1
                                        ; implicit-def: $sgpr30_sgpr31
                                        ; implicit-def: $sgpr46_sgpr47
	s_mov_b64 s[56:57], -1
                                        ; implicit-def: $sgpr8_sgpr9
	s_and_saveexec_b64 s[58:59], s[24:25]
	s_xor_b64 s[24:25], exec, s[58:59]
	s_cbranch_execz .LBB6_41
	s_branch .LBB6_73
.LBB6_56:                               ;   in Loop: Header=BB6_42 Depth=1
	s_or_b64 exec, exec, s[30:31]
	s_mov_b64 s[30:31], -1
	s_mov_b64 s[46:47], 0
	s_orn2_b64 s[60:61], s[60:61], exec
.LBB6_57:                               ;   in Loop: Header=BB6_42 Depth=1
	s_or_b64 exec, exec, s[58:59]
	s_and_saveexec_b64 s[58:59], s[60:61]
	s_xor_b64 s[58:59], exec, s[58:59]
	s_cbranch_execz .LBB6_72
; %bb.58:                               ;   in Loop: Header=BB6_42 Depth=1
	v_mov_b32_e32 v2, s57
	v_add_co_u32_e32 v4, vcc, s9, v44
	v_addc_co_u32_e32 v5, vcc, 0, v2, vcc
	v_cmp_gt_i64_e32 vcc, s[36:37], v[4:5]
	s_mov_b64 s[62:63], -1
	s_waitcnt lgkmcnt(0)
	s_barrier
	s_waitcnt lgkmcnt(0)
                                        ; implicit-def: $sgpr66_sgpr67
                                        ; implicit-def: $sgpr64_sgpr65
	s_and_saveexec_b64 s[60:61], vcc
	s_cbranch_execz .LBB6_69
; %bb.59:                               ;   in Loop: Header=BB6_42 Depth=1
	v_mov_b32_e32 v2, s57
	v_add_co_u32_e32 v6, vcc, s9, v42
	v_addc_co_u32_e32 v7, vcc, 0, v2, vcc
	s_add_u32 s82, s56, s8
	v_cmp_gt_i64_e32 vcc, s[36:37], v[6:7]
	v_add_lshl_u32 v14, v42, s56, 3
	s_mov_b64 s[56:57], 0
	v_mov_b32_e32 v15, v1
                                        ; implicit-def: $sgpr62_sgpr63
                                        ; implicit-def: $sgpr66_sgpr67
                                        ; implicit-def: $sgpr64_sgpr65
	s_branch .LBB6_62
.LBB6_60:                               ;   in Loop: Header=BB6_62 Depth=2
	s_or_b64 exec, exec, s[70:71]
	v_mov_b32_e32 v2, s79
	v_add_co_u32_e64 v4, s[8:9], s76, v4
	v_addc_co_u32_e64 v5, s[8:9], v5, v2, s[8:9]
	v_cmp_le_i64_e64 s[8:9], s[36:37], v[4:5]
	s_andn2_b64 s[66:67], s[66:67], exec
	s_and_b64 s[8:9], s[8:9], exec
	v_subrev_u32_e32 v15, s76, v15
	s_andn2_b64 s[64:65], s[64:65], exec
	s_or_b64 s[66:67], s[66:67], s[8:9]
.LBB6_61:                               ;   in Loop: Header=BB6_62 Depth=2
	s_or_b64 exec, exec, s[68:69]
	s_xor_b64 s[8:9], s[64:65], -1
	s_and_b64 s[68:69], exec, s[66:67]
	s_or_b64 s[56:57], s[68:69], s[56:57]
	s_andn2_b64 s[62:63], s[62:63], exec
	s_and_b64 s[8:9], s[8:9], exec
	s_or_b64 s[62:63], s[62:63], s[8:9]
	s_andn2_b64 exec, exec, s[56:57]
	s_cbranch_execz .LBB6_68
.LBB6_62:                               ;   Parent Loop BB6_42 Depth=1
                                        ; =>  This Loop Header: Depth=2
                                        ;       Child Loop BB6_66 Depth 3
	v_cmp_le_u64_e64 s[8:9], s[22:23], v[4:5]
	s_or_b64 s[64:65], s[64:65], exec
	s_or_b64 s[66:67], s[66:67], exec
	s_and_saveexec_b64 s[68:69], s[8:9]
	s_cbranch_execz .LBB6_61
; %bb.63:                               ;   in Loop: Header=BB6_62 Depth=2
	s_and_saveexec_b64 s[70:71], vcc
	s_cbranch_execz .LBB6_60
; %bb.64:                               ;   in Loop: Header=BB6_62 Depth=2
	v_add_u32_e32 v2, s82, v4
	v_lshl_add_u32 v2, v2, 3, 0
	s_waitcnt lgkmcnt(0)
	ds_read_b64 v[8:9], v2
	v_mov_b32_e32 v2, s13
	v_sub_co_u32_e64 v10, s[8:9], s12, v4
	v_subb_co_u32_e64 v2, s[8:9], v2, v5, s[8:9]
	v_mul_lo_u32 v2, v2, v4
	v_mul_lo_u32 v11, v10, v5
	v_mul_hi_u32 v16, v10, v4
	v_add3_u32 v2, v16, v11, v2
	v_lshrrev_b32_e32 v2, 31, v2
	v_mad_u64_u32 v[10:11], s[8:9], v10, v4, v[2:3]
	v_lshrrev_b32_e32 v2, 1, v10
	s_mov_b32 s83, 0
	v_add_lshl_u32 v2, v15, v2, 3
	s_mov_b64 s[72:73], 0
	v_pk_mov_b32 v[10:11], v[6:7], v[6:7] op_sel:[0,1]
	s_branch .LBB6_66
.LBB6_65:                               ;   in Loop: Header=BB6_66 Depth=3
	s_or_b64 exec, exec, s[74:75]
	v_mov_b32_e32 v16, s78
	v_add_co_u32_e64 v10, s[8:9], s77, v10
	v_addc_co_u32_e64 v11, s[8:9], v11, v16, s[8:9]
	s_add_i32 s83, s83, s81
	v_cmp_le_i64_e64 s[8:9], s[36:37], v[10:11]
	s_or_b64 s[72:73], s[8:9], s[72:73]
	s_andn2_b64 exec, exec, s[72:73]
	s_cbranch_execz .LBB6_60
.LBB6_66:                               ;   Parent Loop BB6_42 Depth=1
                                        ;     Parent Loop BB6_62 Depth=2
                                        ; =>    This Inner Loop Header: Depth=3
	v_cmp_ge_u64_e64 s[8:9], v[10:11], v[4:5]
	s_and_saveexec_b64 s[74:75], s[8:9]
	s_cbranch_execz .LBB6_65
; %bb.67:                               ;   in Loop: Header=BB6_66 Depth=3
	v_add_u32_e32 v16, s83, v14
	v_add_u32_e32 v20, s83, v2
	ds_read_b64 v[16:17], v16 offset:8
	ds_read_b64 v[18:19], v20
	s_waitcnt lgkmcnt(0)
	v_fma_f64 v[16:17], -v[8:9], v[16:17], v[18:19]
	ds_write_b64 v20, v[16:17]
	s_branch .LBB6_65
.LBB6_68:                               ;   in Loop: Header=BB6_42 Depth=1
	s_or_b64 exec, exec, s[56:57]
	s_mov_b64 s[64:65], 0
	s_mov_b64 s[66:67], -1
	s_orn2_b64 s[62:63], s[62:63], exec
.LBB6_69:                               ;   in Loop: Header=BB6_42 Depth=1
	s_or_b64 exec, exec, s[60:61]
	s_mov_b64 s[8:9], s[24:25]
	s_and_saveexec_b64 s[56:57], s[62:63]
	s_cbranch_execz .LBB6_71
; %bb.70:                               ;   in Loop: Header=BB6_42 Depth=1
	s_or_b64 s[8:9], s[24:25], exec
	s_waitcnt lgkmcnt(0)
	s_barrier
	s_waitcnt lgkmcnt(0)
                                        ; implicit-def: $sgpr66_sgpr67
                                        ; implicit-def: $sgpr64_sgpr65
.LBB6_71:                               ;   in Loop: Header=BB6_42 Depth=1
	s_or_b64 exec, exec, s[56:57]
	s_andn2_b64 s[46:47], s[46:47], exec
	s_and_b64 s[56:57], s[66:67], exec
	s_or_b64 s[46:47], s[46:47], s[56:57]
	s_andn2_b64 s[30:31], s[30:31], exec
	s_and_b64 s[56:57], s[64:65], exec
	s_andn2_b64 s[24:25], s[24:25], exec
	s_and_b64 s[8:9], s[8:9], exec
	s_or_b64 s[30:31], s[30:31], s[56:57]
	s_or_b64 s[24:25], s[24:25], s[8:9]
.LBB6_72:                               ;   in Loop: Header=BB6_42 Depth=1
	s_or_b64 exec, exec, s[58:59]
	s_mov_b64 s[56:57], -1
                                        ; implicit-def: $sgpr8_sgpr9
	s_and_saveexec_b64 s[58:59], s[24:25]
	s_xor_b64 s[24:25], exec, s[58:59]
	s_cbranch_execz .LBB6_41
.LBB6_73:                               ;   in Loop: Header=BB6_42 Depth=1
	s_and_b64 vcc, exec, s[6:7]
                                        ; implicit-def: $sgpr8_sgpr9
	s_cbranch_vccz .LBB6_40
; %bb.74:                               ;   in Loop: Header=BB6_42 Depth=1
	s_add_u32 s6, s22, 1
	s_addc_u32 s7, s23, 0
	s_not_b64 s[8:9], s[22:23]
	s_cmp_eq_u64 s[6:7], s[36:37]
	s_cselect_b64 s[56:57], -1, 0
	s_mov_b64 s[22:23], s[6:7]
	s_branch .LBB6_40
.LBB6_75:
	s_or_b64 exec, exec, s[16:17]
	s_mov_b64 s[4:5], 0
	s_mov_b64 s[46:47], -1
	s_mov_b64 s[56:57], 0
	s_and_saveexec_b64 s[6:7], s[18:19]
	s_xor_b64 s[6:7], exec, s[6:7]
; %bb.76:
	s_mov_b64 s[56:57], exec
	s_xor_b64 s[46:47], exec, -1
	s_and_b64 s[4:5], s[14:15], exec
; %bb.77:
	s_or_b64 exec, exec, s[6:7]
	s_mov_b64 s[60:61], s[34:35]
	s_and_saveexec_b64 s[58:59], s[4:5]
	s_cbranch_execnz .LBB6_81
.LBB6_78:
	s_or_b64 exec, exec, s[58:59]
	s_and_saveexec_b64 s[4:5], s[56:57]
	s_xor_b64 s[28:29], exec, s[4:5]
	s_cbranch_execz .LBB6_116
.LBB6_79:
	s_add_u32 s8, s26, 56
	s_addc_u32 s9, s27, 0
	s_getpc_b64 s[4:5]
	s_add_u32 s4, s4, .str.8@rel32@lo+4
	s_addc_u32 s5, s5, .str.8@rel32@hi+12
	s_getpc_b64 s[6:7]
	s_add_u32 s6, s6, __PRETTY_FUNCTION__._ZN9rocsolver6v33100L9idx_lowerIlEET_S2_S2_S2_@rel32@lo+4
	s_addc_u32 s7, s7, __PRETTY_FUNCTION__._ZN9rocsolver6v33100L9idx_lowerIlEET_S2_S2_S2_@rel32@hi+12
	v_mov_b32_e32 v0, s4
	v_mov_b32_e32 v1, s5
	;; [unrolled: 1-line block ×5, first 2 shown]
	s_getpc_b64 s[10:11]
	s_add_u32 s10, s10, __assert_fail@rel32@lo+4
	s_addc_u32 s11, s11, __assert_fail@rel32@hi+12
	s_swappc_b64 s[30:31], s[10:11]
	s_or_b64 s[60:61], s[60:61], exec
	s_or_b64 exec, exec, s[28:29]
	s_and_saveexec_b64 s[4:5], s[46:47]
	s_xor_b64 s[28:29], exec, s[4:5]
	s_cbranch_execnz .LBB6_117
	s_branch .LBB6_118
.LBB6_80:
	s_mov_b64 s[4:5], -1
	s_mov_b64 s[46:47], 0
	s_mov_b64 s[60:61], s[34:35]
	s_and_saveexec_b64 s[58:59], s[4:5]
	s_cbranch_execz .LBB6_78
.LBB6_81:
	s_mov_b64 s[4:5], -1
	s_mov_b64 s[60:61], 0
	s_and_b64 vcc, exec, s[54:55]
	s_mov_b64 s[6:7], 0
	s_mov_b64 s[54:55], s[34:35]
	s_waitcnt lgkmcnt(0)
	s_barrier
	s_cbranch_vccz .LBB6_93
; %bb.82:
	s_mov_b64 s[6:7], -1
	s_mov_b64 s[54:55], s[34:35]
	s_and_saveexec_b64 s[62:63], s[28:29]
	s_cbranch_execz .LBB6_108
; %bb.83:
	v_mad_u64_u32 v[2:3], s[8:9], s42, v44, 0
	v_mov_b32_e32 v1, 0
	s_mul_i32 s6, s45, s50
	s_mul_hi_u32 s7, s44, s50
	v_mov_b32_e32 v0, v3
	s_lshl_b64 s[4:5], s[36:37], 1
	s_add_i32 s7, s7, s6
	s_mul_i32 s6, s44, s50
	v_mad_u64_u32 v[4:5], s[8:9], s43, v44, v[0:1]
	s_or_b32 s4, s4, 1
	s_lshl_b64 s[6:7], s[6:7], 3
	s_lshl_b64 s[8:9], s[40:41], 3
	v_mov_b32_e32 v3, v4
	s_add_u32 s6, s8, s6
	v_lshlrev_b64 v[2:3], 3, v[2:3]
	s_addc_u32 s7, s9, s7
	v_mov_b32_e32 v0, s7
	v_add_co_u32_e32 v2, vcc, s6, v2
	v_addc_co_u32_e32 v0, vcc, v0, v3, vcc
	v_add_lshl_u32 v3, v44, v42, 3
	s_lshl_b64 s[6:7], s[42:43], 3
	v_add_co_u32_e32 v2, vcc, v2, v3
	s_add_u32 s6, s6, 8
	v_addc_co_u32_e32 v0, vcc, 0, v0, vcc
	s_addc_u32 s7, s7, 0
	s_mov_b32 s24, 0
	v_mov_b32_e32 v3, s39
	v_add_co_u32_e32 v2, vcc, s38, v2
	s_mul_i32 s7, s7, s76
	s_mul_hi_u32 s8, s6, s76
	s_mov_b32 s25, s24
	v_addc_co_u32_e32 v3, vcc, v3, v0, vcc
	s_add_i32 s30, s8, s7
	s_mul_i32 s31, s6, s76
	s_lshl_b32 s33, s77, 3
	s_mov_b32 s51, s24
	s_mov_b64 s[8:9], 0
	v_pk_mov_b32 v[4:5], v[44:45], v[44:45] op_sel:[0,1]
                                        ; implicit-def: $sgpr6_sgpr7
                                        ; implicit-def: $sgpr10_sgpr11
	s_branch .LBB6_85
.LBB6_84:                               ;   in Loop: Header=BB6_85 Depth=1
	s_or_b64 exec, exec, s[12:13]
	s_and_b64 s[12:13], exec, s[14:15]
	s_or_b64 s[8:9], s[12:13], s[8:9]
	s_andn2_b64 s[6:7], s[6:7], exec
	s_and_b64 s[12:13], s[10:11], exec
	s_or_b64 s[6:7], s[6:7], s[12:13]
	s_andn2_b64 exec, exec, s[8:9]
	s_cbranch_execz .LBB6_105
.LBB6_85:                               ; =>This Loop Header: Depth=1
                                        ;     Child Loop BB6_88 Depth 2
	v_add_co_u32_e32 v6, vcc, v4, v42
	v_addc_co_u32_e32 v7, vcc, 0, v5, vcc
	v_cmp_gt_i64_e32 vcc, s[36:37], v[6:7]
	s_mov_b64 s[16:17], -1
                                        ; implicit-def: $sgpr18_sgpr19
	s_and_saveexec_b64 s[12:13], vcc
	s_cbranch_execz .LBB6_91
; %bb.86:                               ;   in Loop: Header=BB6_85 Depth=1
	v_mov_b32_e32 v0, s5
	v_sub_co_u32_e32 v8, vcc, s4, v4
	v_subb_co_u32_e32 v0, vcc, v0, v5, vcc
	v_mul_lo_u32 v0, v0, v4
	v_mul_lo_u32 v9, v8, v5
	v_mul_hi_u32 v10, v8, v4
	v_add3_u32 v0, v10, v9, v0
	v_lshrrev_b32_e32 v0, 31, v0
	v_mad_u64_u32 v[8:9], s[14:15], v8, v4, v[0:1]
	v_lshrrev_b32_e32 v0, 1, v8
	v_add_u32_e32 v0, v42, v0
	v_lshl_add_u32 v0, v0, 3, 0
	s_mov_b64 s[14:15], 0
	v_pk_mov_b32 v[8:9], v[2:3], v[2:3] op_sel:[0,1]
                                        ; implicit-def: $sgpr16_sgpr17
                                        ; implicit-def: $sgpr20_sgpr21
                                        ; implicit-def: $sgpr18_sgpr19
	s_branch .LBB6_88
.LBB6_87:                               ;   in Loop: Header=BB6_88 Depth=2
	s_or_b64 exec, exec, s[22:23]
	s_xor_b64 s[22:23], s[18:19], -1
	s_and_b64 s[54:55], exec, s[20:21]
	s_or_b64 s[14:15], s[54:55], s[14:15]
	s_andn2_b64 s[16:17], s[16:17], exec
	s_and_b64 s[22:23], s[22:23], exec
	s_or_b64 s[16:17], s[16:17], s[22:23]
	s_andn2_b64 exec, exec, s[14:15]
	s_cbranch_execz .LBB6_90
.LBB6_88:                               ;   Parent Loop BB6_85 Depth=1
                                        ; =>  This Inner Loop Header: Depth=2
	v_cmp_ge_u64_e32 vcc, v[6:7], v[4:5]
	s_or_b64 s[18:19], s[18:19], exec
	s_or_b64 s[20:21], s[20:21], exec
	s_and_saveexec_b64 s[22:23], vcc
	s_cbranch_execz .LBB6_87
; %bb.89:                               ;   in Loop: Header=BB6_88 Depth=2
	ds_read_b64 v[10:11], v0
	v_mov_b32_e32 v12, s24
	v_add_co_u32_e32 v6, vcc, s77, v6
	v_addc_co_u32_e32 v7, vcc, v7, v12, vcc
	s_waitcnt lgkmcnt(0)
	global_store_dwordx2 v[8:9], v[10:11], off
	v_mov_b32_e32 v10, s51
	v_add_co_u32_e32 v8, vcc, s33, v8
	v_addc_co_u32_e32 v9, vcc, v9, v10, vcc
	v_cmp_le_i64_e32 vcc, s[36:37], v[6:7]
	s_andn2_b64 s[20:21], s[20:21], exec
	s_and_b64 s[54:55], vcc, exec
	v_add_u32_e32 v0, s33, v0
	s_andn2_b64 s[18:19], s[18:19], exec
	s_or_b64 s[20:21], s[20:21], s[54:55]
	s_branch .LBB6_87
.LBB6_90:                               ;   in Loop: Header=BB6_85 Depth=1
	s_or_b64 exec, exec, s[14:15]
	s_mov_b64 s[18:19], -1
	s_orn2_b64 s[16:17], s[16:17], exec
.LBB6_91:                               ;   in Loop: Header=BB6_85 Depth=1
	s_or_b64 exec, exec, s[12:13]
	s_andn2_b64 s[10:11], s[10:11], exec
	s_and_b64 s[12:13], s[18:19], exec
	s_mov_b64 s[14:15], -1
	s_or_b64 s[10:11], s[10:11], s[12:13]
	s_and_saveexec_b64 s[12:13], s[16:17]
	s_cbranch_execz .LBB6_84
; %bb.92:                               ;   in Loop: Header=BB6_85 Depth=1
	v_mov_b32_e32 v0, s25
	v_add_co_u32_e32 v4, vcc, s76, v4
	v_addc_co_u32_e32 v5, vcc, v5, v0, vcc
	v_mov_b32_e32 v0, s30
	v_add_co_u32_e32 v2, vcc, s31, v2
	v_addc_co_u32_e32 v3, vcc, v3, v0, vcc
	v_cmp_le_i64_e32 vcc, s[36:37], v[4:5]
	s_andn2_b64 s[10:11], s[10:11], exec
	s_orn2_b64 s[14:15], vcc, exec
	s_branch .LBB6_84
.LBB6_93:
	s_and_b64 vcc, exec, s[4:5]
	s_cbranch_vccz .LBB6_109
; %bb.94:
	s_mov_b64 s[6:7], -1
	s_mov_b64 s[60:61], 0
	s_and_saveexec_b64 s[4:5], s[28:29]
	s_cbranch_execz .LBB6_112
; %bb.95:
	s_lshl_b64 s[6:7], s[36:37], 1
	v_mov_b32_e32 v0, s7
	v_sub_co_u32_e32 v2, vcc, s6, v42
	v_subbrev_co_u32_e32 v0, vcc, 0, v0, vcc
	v_add_co_u32_e32 v2, vcc, 1, v2
	v_mad_u64_u32 v[4:5], s[8:9], s42, v44, 0
	v_mov_b32_e32 v1, 0
	v_addc_co_u32_e32 v3, vcc, 0, v0, vcc
	s_mul_i32 s6, s45, s50
	s_mul_hi_u32 s7, s44, s50
	v_mov_b32_e32 v0, v5
	s_add_i32 s7, s7, s6
	s_mul_i32 s6, s44, s50
	v_mad_u64_u32 v[6:7], s[8:9], s43, v44, v[0:1]
	s_lshl_b64 s[6:7], s[6:7], 3
	s_lshl_b64 s[8:9], s[40:41], 3
	v_mov_b32_e32 v5, v6
	s_add_u32 s6, s8, s6
	v_lshlrev_b64 v[4:5], 3, v[4:5]
	s_addc_u32 s7, s9, s7
	v_mov_b32_e32 v0, s7
	v_add_co_u32_e32 v4, vcc, s6, v4
	v_addc_co_u32_e32 v0, vcc, v0, v5, vcc
	v_lshlrev_b32_e32 v5, 3, v42
	v_add_co_u32_e32 v4, vcc, v4, v5
	v_addc_co_u32_e32 v0, vcc, 0, v0, vcc
	s_mul_i32 s6, s43, s76
	s_mul_hi_u32 s7, s42, s76
	s_mov_b32 s24, 0
	v_mov_b32_e32 v5, s39
	v_add_co_u32_e32 v4, vcc, s38, v4
	s_add_i32 s7, s7, s6
	s_mul_i32 s6, s42, s76
	v_mov_b32_e32 v43, v1
	s_mov_b32 s25, s24
	v_sub_u32_e32 v12, v44, v42
	v_addc_co_u32_e32 v5, vcc, v5, v0, vcc
	s_lshl_b64 s[6:7], s[6:7], 3
	s_lshl_b32 s28, s77, 3
	s_mov_b32 s29, s24
	s_mov_b64 s[8:9], 0
                                        ; implicit-def: $sgpr10_sgpr11
	s_branch .LBB6_97
.LBB6_96:                               ;   in Loop: Header=BB6_97 Depth=1
	s_or_b64 exec, exec, s[12:13]
	s_xor_b64 s[12:13], s[14:15], -1
	s_and_b64 s[14:15], exec, s[16:17]
	s_or_b64 s[8:9], s[14:15], s[8:9]
	s_andn2_b64 s[10:11], s[10:11], exec
	s_and_b64 s[12:13], s[12:13], exec
	s_or_b64 s[10:11], s[10:11], s[12:13]
	s_andn2_b64 exec, exec, s[8:9]
	s_cbranch_execz .LBB6_111
.LBB6_97:                               ; =>This Loop Header: Depth=1
                                        ;     Child Loop BB6_100 Depth 2
	v_cmp_ge_u64_e32 vcc, v[44:45], v[42:43]
	s_mov_b64 s[18:19], -1
                                        ; implicit-def: $sgpr14_sgpr15
	s_and_saveexec_b64 s[12:13], vcc
	s_cbranch_execz .LBB6_103
; %bb.98:                               ;   in Loop: Header=BB6_97 Depth=1
	s_mov_b64 s[14:15], 0
	v_pk_mov_b32 v[6:7], v[4:5], v[4:5] op_sel:[0,1]
	v_mov_b32_e32 v13, v12
	v_pk_mov_b32 v[8:9], v[2:3], v[2:3] op_sel:[0,1]
	v_pk_mov_b32 v[10:11], v[42:43], v[42:43] op_sel:[0,1]
                                        ; implicit-def: $sgpr16_sgpr17
                                        ; implicit-def: $sgpr20_sgpr21
                                        ; implicit-def: $sgpr18_sgpr19
	s_branch .LBB6_100
.LBB6_99:                               ;   in Loop: Header=BB6_100 Depth=2
	s_or_b64 exec, exec, s[22:23]
	s_xor_b64 s[22:23], s[18:19], -1
	s_and_b64 s[30:31], exec, s[20:21]
	s_or_b64 s[14:15], s[30:31], s[14:15]
	s_andn2_b64 s[16:17], s[16:17], exec
	s_and_b64 s[22:23], s[22:23], exec
	s_or_b64 s[16:17], s[16:17], s[22:23]
	s_andn2_b64 exec, exec, s[14:15]
	s_cbranch_execz .LBB6_102
.LBB6_100:                              ;   Parent Loop BB6_97 Depth=1
                                        ; =>  This Inner Loop Header: Depth=2
	v_cmp_gt_i64_e32 vcc, s[36:37], v[10:11]
	s_or_b64 s[18:19], s[18:19], exec
	s_or_b64 s[20:21], s[20:21], exec
	s_and_saveexec_b64 s[22:23], vcc
	s_cbranch_execz .LBB6_99
; %bb.101:                              ;   in Loop: Header=BB6_100 Depth=2
	v_mul_lo_u32 v0, v9, v10
	v_mul_lo_u32 v14, v8, v11
	v_mul_hi_u32 v15, v8, v10
	v_add3_u32 v0, v15, v14, v0
	v_lshrrev_b32_e32 v0, 31, v0
	v_mad_u64_u32 v[14:15], s[30:31], v8, v10, v[0:1]
	v_lshrrev_b32_e32 v0, 1, v14
	v_add_u32_e32 v0, v13, v0
	v_lshl_add_u32 v0, v0, 3, 0
	ds_read_b64 v[14:15], v0
	v_mov_b32_e32 v0, s24
	v_add_co_u32_e32 v10, vcc, s77, v10
	v_addc_co_u32_e32 v11, vcc, v11, v0, vcc
	v_subrev_co_u32_e32 v8, vcc, s77, v8
	v_subb_co_u32_e32 v9, vcc, v9, v0, vcc
	s_waitcnt lgkmcnt(0)
	global_store_dwordx2 v[6:7], v[14:15], off
	v_mov_b32_e32 v0, s29
	v_add_co_u32_e32 v6, vcc, s28, v6
	v_addc_co_u32_e32 v7, vcc, v7, v0, vcc
	v_cmp_gt_u64_e32 vcc, v[10:11], v[44:45]
	s_andn2_b64 s[20:21], s[20:21], exec
	s_and_b64 s[30:31], vcc, exec
	v_subrev_u32_e32 v13, s77, v13
	s_andn2_b64 s[18:19], s[18:19], exec
	s_or_b64 s[20:21], s[20:21], s[30:31]
	s_branch .LBB6_99
.LBB6_102:                              ;   in Loop: Header=BB6_97 Depth=1
	s_or_b64 exec, exec, s[14:15]
	s_mov_b64 s[14:15], -1
	s_orn2_b64 s[18:19], s[16:17], exec
.LBB6_103:                              ;   in Loop: Header=BB6_97 Depth=1
	s_or_b64 exec, exec, s[12:13]
	s_mov_b64 s[16:17], -1
	s_and_saveexec_b64 s[12:13], s[18:19]
	s_cbranch_execz .LBB6_96
; %bb.104:                              ;   in Loop: Header=BB6_97 Depth=1
	v_mov_b32_e32 v0, s25
	v_add_co_u32_e32 v44, vcc, s76, v44
	v_addc_co_u32_e32 v45, vcc, v45, v0, vcc
	v_mov_b32_e32 v0, s7
	v_add_co_u32_e32 v4, vcc, s6, v4
	v_addc_co_u32_e32 v5, vcc, v5, v0, vcc
	v_cmp_le_i64_e32 vcc, s[36:37], v[44:45]
	v_add_u32_e32 v12, s76, v12
	s_andn2_b64 s[14:15], s[14:15], exec
	s_orn2_b64 s[16:17], vcc, exec
	s_branch .LBB6_96
.LBB6_105:
	s_or_b64 exec, exec, s[8:9]
	s_mov_b64 s[4:5], -1
	s_mov_b64 s[8:9], s[34:35]
	s_and_saveexec_b64 s[10:11], s[6:7]
	s_xor_b64 s[54:55], exec, s[10:11]
	s_cbranch_execz .LBB6_107
; %bb.106:
	s_add_u32 s8, s26, 56
	s_addc_u32 s9, s27, 0
	s_getpc_b64 s[4:5]
	s_add_u32 s4, s4, .str.8@rel32@lo+4
	s_addc_u32 s5, s5, .str.8@rel32@hi+12
	s_getpc_b64 s[6:7]
	s_add_u32 s6, s6, __PRETTY_FUNCTION__._ZN9rocsolver6v33100L9idx_lowerIlEET_S2_S2_S2_@rel32@lo+4
	s_addc_u32 s7, s7, __PRETTY_FUNCTION__._ZN9rocsolver6v33100L9idx_lowerIlEET_S2_S2_S2_@rel32@hi+12
	v_mov_b32_e32 v0, s4
	v_mov_b32_e32 v1, s5
	;; [unrolled: 1-line block ×5, first 2 shown]
	s_getpc_b64 s[10:11]
	s_add_u32 s10, s10, __assert_fail@rel32@lo+4
	s_addc_u32 s11, s11, __assert_fail@rel32@hi+12
	s_swappc_b64 s[30:31], s[10:11]
	s_or_b64 s[8:9], s[34:35], exec
	s_xor_b64 s[4:5], exec, -1
.LBB6_107:
	s_or_b64 exec, exec, s[54:55]
	s_andn2_b64 s[6:7], s[34:35], exec
	s_and_b64 s[8:9], s[8:9], exec
	s_or_b64 s[54:55], s[6:7], s[8:9]
	s_orn2_b64 s[6:7], s[4:5], exec
.LBB6_108:
	s_or_b64 exec, exec, s[62:63]
.LBB6_109:
	s_and_saveexec_b64 s[4:5], s[6:7]
	s_cbranch_execz .LBB6_113
.LBB6_110:
	s_barrier
	s_andn2_b64 s[60:61], s[60:61], exec
	s_or_b64 exec, exec, s[4:5]
	s_and_saveexec_b64 s[4:5], s[60:61]
	s_xor_b64 s[28:29], exec, s[4:5]
	s_cbranch_execnz .LBB6_114
	s_branch .LBB6_115
.LBB6_111:
	s_or_b64 exec, exec, s[8:9]
	s_mov_b64 s[60:61], exec
	s_orn2_b64 s[6:7], s[10:11], exec
.LBB6_112:
	s_or_b64 exec, exec, s[4:5]
	s_and_saveexec_b64 s[4:5], s[6:7]
	s_cbranch_execnz .LBB6_110
.LBB6_113:
	s_or_b64 exec, exec, s[4:5]
	s_and_saveexec_b64 s[4:5], s[60:61]
	s_xor_b64 s[28:29], exec, s[4:5]
	s_cbranch_execz .LBB6_115
.LBB6_114:
	s_add_u32 s8, s26, 56
	s_addc_u32 s9, s27, 0
	s_getpc_b64 s[4:5]
	s_add_u32 s4, s4, .str.7@rel32@lo+4
	s_addc_u32 s5, s5, .str.7@rel32@hi+12
	s_getpc_b64 s[6:7]
	s_add_u32 s6, s6, __PRETTY_FUNCTION__._ZN9rocsolver6v33100L9idx_lowerIlEET_S2_S2_S2_@rel32@lo+4
	s_addc_u32 s7, s7, __PRETTY_FUNCTION__._ZN9rocsolver6v33100L9idx_lowerIlEET_S2_S2_S2_@rel32@hi+12
	v_mov_b32_e32 v0, s4
	v_mov_b32_e32 v1, s5
	;; [unrolled: 1-line block ×5, first 2 shown]
	s_getpc_b64 s[10:11]
	s_add_u32 s10, s10, __assert_fail@rel32@lo+4
	s_addc_u32 s11, s11, __assert_fail@rel32@hi+12
	s_swappc_b64 s[30:31], s[10:11]
	s_or_b64 s[54:55], s[54:55], exec
.LBB6_115:
	s_or_b64 exec, exec, s[28:29]
	s_andn2_b64 s[4:5], s[34:35], exec
	s_and_b64 s[6:7], s[54:55], exec
	s_or_b64 s[60:61], s[4:5], s[6:7]
	s_andn2_b64 s[56:57], s[56:57], exec
	s_or_b64 exec, exec, s[58:59]
	s_and_saveexec_b64 s[4:5], s[56:57]
	s_xor_b64 s[28:29], exec, s[4:5]
	s_cbranch_execnz .LBB6_79
.LBB6_116:
	s_or_b64 exec, exec, s[28:29]
	s_and_saveexec_b64 s[4:5], s[46:47]
	s_xor_b64 s[28:29], exec, s[4:5]
	s_cbranch_execz .LBB6_118
.LBB6_117:
	s_add_u32 s8, s26, 56
	s_addc_u32 s9, s27, 0
	s_getpc_b64 s[4:5]
	s_add_u32 s4, s4, .str.8@rel32@lo+4
	s_addc_u32 s5, s5, .str.8@rel32@hi+12
	s_getpc_b64 s[6:7]
	s_add_u32 s6, s6, __PRETTY_FUNCTION__._ZN9rocsolver6v33100L9idx_lowerIlEET_S2_S2_S2_@rel32@lo+4
	s_addc_u32 s7, s7, __PRETTY_FUNCTION__._ZN9rocsolver6v33100L9idx_lowerIlEET_S2_S2_S2_@rel32@hi+12
	v_mov_b32_e32 v0, s4
	v_mov_b32_e32 v1, s5
	;; [unrolled: 1-line block ×5, first 2 shown]
	s_getpc_b64 s[10:11]
	s_add_u32 s10, s10, __assert_fail@rel32@lo+4
	s_addc_u32 s11, s11, __assert_fail@rel32@hi+12
	s_swappc_b64 s[30:31], s[10:11]
	s_or_b64 s[60:61], s[60:61], exec
.LBB6_118:
	s_or_b64 exec, exec, s[28:29]
	s_andn2_b64 s[4:5], s[34:35], exec
	s_and_b64 s[6:7], s[60:61], exec
	s_or_b64 s[34:35], s[4:5], s[6:7]
	s_andn2_b64 s[48:49], s[48:49], exec
.LBB6_119:
	s_or_b64 exec, exec, s[52:53]
	s_and_saveexec_b64 s[4:5], s[48:49]
	s_xor_b64 s[28:29], exec, s[4:5]
	s_cbranch_execz .LBB6_121
; %bb.120:
	s_add_u32 s8, s26, 56
	s_addc_u32 s9, s27, 0
	s_getpc_b64 s[4:5]
	s_add_u32 s4, s4, .str.7@rel32@lo+4
	s_addc_u32 s5, s5, .str.7@rel32@hi+12
	s_getpc_b64 s[6:7]
	s_add_u32 s6, s6, __PRETTY_FUNCTION__._ZN9rocsolver6v33100L9idx_lowerIlEET_S2_S2_S2_@rel32@lo+4
	s_addc_u32 s7, s7, __PRETTY_FUNCTION__._ZN9rocsolver6v33100L9idx_lowerIlEET_S2_S2_S2_@rel32@hi+12
	v_mov_b32_e32 v0, s4
	v_mov_b32_e32 v1, s5
	;; [unrolled: 1-line block ×5, first 2 shown]
	s_getpc_b64 s[10:11]
	s_add_u32 s10, s10, __assert_fail@rel32@lo+4
	s_addc_u32 s11, s11, __assert_fail@rel32@hi+12
	s_swappc_b64 s[30:31], s[10:11]
	s_or_b64 s[34:35], s[34:35], exec
.LBB6_121:
	s_or_b64 exec, exec, s[28:29]
	s_branch .LBB6_123
.LBB6_122:
	s_add_u32 s8, s26, 56
	s_addc_u32 s9, s27, 0
	s_getpc_b64 s[4:5]
	s_add_u32 s4, s4, .str.3@rel32@lo+4
	s_addc_u32 s5, s5, .str.3@rel32@hi+12
	s_getpc_b64 s[6:7]
	s_add_u32 s6, s6, __PRETTY_FUNCTION__._ZN9rocsolver6v33100L18potf2_kernel_smallIdliPdEEvbT0_T2_lS3_lPT1_@rel32@lo+4
	s_addc_u32 s7, s7, __PRETTY_FUNCTION__._ZN9rocsolver6v33100L18potf2_kernel_smallIdliPdEEvbT0_T2_lS3_lPT1_@rel32@hi+12
	v_mov_b32_e32 v0, s4
	v_mov_b32_e32 v1, s5
	;; [unrolled: 1-line block ×5, first 2 shown]
	s_getpc_b64 s[10:11]
	s_add_u32 s10, s10, __assert_fail@rel32@lo+4
	s_addc_u32 s11, s11, __assert_fail@rel32@hi+12
	s_swappc_b64 s[30:31], s[10:11]
	s_or_b64 s[34:35], s[34:35], exec
.LBB6_123:
	s_branch .LBB6_125
.LBB6_124:
	s_add_u32 s8, s26, 56
	s_addc_u32 s9, s27, 0
	s_getpc_b64 s[4:5]
	s_add_u32 s4, s4, .str.2@rel32@lo+4
	s_addc_u32 s5, s5, .str.2@rel32@hi+12
	s_getpc_b64 s[6:7]
	s_add_u32 s6, s6, __PRETTY_FUNCTION__._ZN9rocsolver6v33100L18potf2_kernel_smallIdliPdEEvbT0_T2_lS3_lPT1_@rel32@lo+4
	s_addc_u32 s7, s7, __PRETTY_FUNCTION__._ZN9rocsolver6v33100L18potf2_kernel_smallIdliPdEEvbT0_T2_lS3_lPT1_@rel32@hi+12
	v_mov_b32_e32 v0, s4
	v_mov_b32_e32 v1, s5
	;; [unrolled: 1-line block ×5, first 2 shown]
	s_getpc_b64 s[10:11]
	s_add_u32 s10, s10, __assert_fail@rel32@lo+4
	s_addc_u32 s11, s11, __assert_fail@rel32@hi+12
	s_swappc_b64 s[30:31], s[10:11]
	s_or_b64 s[34:35], s[34:35], exec
.LBB6_125:
	s_and_saveexec_b64 s[4:5], s[34:35]
; %bb.126:
	; divergent unreachable
; %bb.127:
	s_endpgm
	.section	.rodata,"a",@progbits
	.p2align	6, 0x0
	.amdhsa_kernel _ZN9rocsolver6v33100L18potf2_kernel_smallIdliPdEEvbT0_T2_lS3_lPT1_
		.amdhsa_group_segment_fixed_size 0
		.amdhsa_private_segment_fixed_size 64
		.amdhsa_kernarg_size 312
		.amdhsa_user_sgpr_count 8
		.amdhsa_user_sgpr_private_segment_buffer 1
		.amdhsa_user_sgpr_dispatch_ptr 0
		.amdhsa_user_sgpr_queue_ptr 0
		.amdhsa_user_sgpr_kernarg_segment_ptr 1
		.amdhsa_user_sgpr_dispatch_id 0
		.amdhsa_user_sgpr_flat_scratch_init 1
		.amdhsa_user_sgpr_kernarg_preload_length 0
		.amdhsa_user_sgpr_kernarg_preload_offset 0
		.amdhsa_user_sgpr_private_segment_size 0
		.amdhsa_uses_dynamic_stack 0
		.amdhsa_system_sgpr_private_segment_wavefront_offset 1
		.amdhsa_system_sgpr_workgroup_id_x 1
		.amdhsa_system_sgpr_workgroup_id_y 0
		.amdhsa_system_sgpr_workgroup_id_z 1
		.amdhsa_system_sgpr_workgroup_info 0
		.amdhsa_system_vgpr_workitem_id 2
		.amdhsa_next_free_vgpr 51
		.amdhsa_next_free_sgpr 84
		.amdhsa_accum_offset 52
		.amdhsa_reserve_vcc 1
		.amdhsa_reserve_flat_scratch 1
		.amdhsa_float_round_mode_32 0
		.amdhsa_float_round_mode_16_64 0
		.amdhsa_float_denorm_mode_32 3
		.amdhsa_float_denorm_mode_16_64 3
		.amdhsa_dx10_clamp 1
		.amdhsa_ieee_mode 1
		.amdhsa_fp16_overflow 0
		.amdhsa_tg_split 0
		.amdhsa_exception_fp_ieee_invalid_op 0
		.amdhsa_exception_fp_denorm_src 0
		.amdhsa_exception_fp_ieee_div_zero 0
		.amdhsa_exception_fp_ieee_overflow 0
		.amdhsa_exception_fp_ieee_underflow 0
		.amdhsa_exception_fp_ieee_inexact 0
		.amdhsa_exception_int_div_zero 0
	.end_amdhsa_kernel
	.section	.text._ZN9rocsolver6v33100L18potf2_kernel_smallIdliPdEEvbT0_T2_lS3_lPT1_,"axG",@progbits,_ZN9rocsolver6v33100L18potf2_kernel_smallIdliPdEEvbT0_T2_lS3_lPT1_,comdat
.Lfunc_end6:
	.size	_ZN9rocsolver6v33100L18potf2_kernel_smallIdliPdEEvbT0_T2_lS3_lPT1_, .Lfunc_end6-_ZN9rocsolver6v33100L18potf2_kernel_smallIdliPdEEvbT0_T2_lS3_lPT1_
                                        ; -- End function
	.section	.AMDGPU.csdata,"",@progbits
; Kernel info:
; codeLenInByte = 5204
; NumSgprs: 90
; NumVgprs: 51
; NumAgprs: 0
; TotalNumVgprs: 51
; ScratchSize: 64
; MemoryBound: 0
; FloatMode: 240
; IeeeMode: 1
; LDSByteSize: 0 bytes/workgroup (compile time only)
; SGPRBlocks: 11
; VGPRBlocks: 6
; NumSGPRsForWavesPerEU: 90
; NumVGPRsForWavesPerEU: 51
; AccumOffset: 52
; Occupancy: 8
; WaveLimiterHint : 1
; COMPUTE_PGM_RSRC2:SCRATCH_EN: 1
; COMPUTE_PGM_RSRC2:USER_SGPR: 8
; COMPUTE_PGM_RSRC2:TRAP_HANDLER: 0
; COMPUTE_PGM_RSRC2:TGID_X_EN: 1
; COMPUTE_PGM_RSRC2:TGID_Y_EN: 0
; COMPUTE_PGM_RSRC2:TGID_Z_EN: 1
; COMPUTE_PGM_RSRC2:TIDIG_COMP_CNT: 2
; COMPUTE_PGM_RSRC3_GFX90A:ACCUM_OFFSET: 12
; COMPUTE_PGM_RSRC3_GFX90A:TG_SPLIT: 0
	.text
	.p2alignl 6, 3212836864
	.fill 256, 4, 3212836864
	.type	__const.__assert_fail.fmt,@object ; @__const.__assert_fail.fmt
	.section	.rodata.str1.16,"aMS",@progbits,1
	.p2align	4, 0x0
__const.__assert_fail.fmt:
	.asciz	"%s:%u: %s: Device-side assertion `%s' failed.\n"
	.size	__const.__assert_fail.fmt, 47

	.type	.str,@object                    ; @.str
	.section	.rodata.str1.1,"aMS",@progbits,1
.str:
	.asciz	"hipBlockDim_z == 1"
	.size	.str, 19

	.type	.str.1,@object                  ; @.str.1
.str.1:
	.asciz	"/root/src/amdgpu-assembly/repos/ROCm__rocSOLVER/library/src/specialized/roclapack_potf2_specialized_kernels.hpp"
	.size	.str.1, 112

	.type	__PRETTY_FUNCTION__._ZN9rocsolver6v33100L18potf2_kernel_smallIdiiPdEEvbT0_T2_lS3_lPT1_,@object ; @__PRETTY_FUNCTION__._ZN9rocsolver6v33100L18potf2_kernel_smallIdiiPdEEvbT0_T2_lS3_lPT1_
__PRETTY_FUNCTION__._ZN9rocsolver6v33100L18potf2_kernel_smallIdiiPdEEvbT0_T2_lS3_lPT1_:
	.asciz	"void rocsolver::potf2_kernel_small(const bool, const I, U, const rocblas_stride, const I, const rocblas_stride, INFO *const) [T = double, I = int, INFO = int, U = double *]"
	.size	__PRETTY_FUNCTION__._ZN9rocsolver6v33100L18potf2_kernel_smallIdiiPdEEvbT0_T2_lS3_lPT1_, 173

	.type	.str.2,@object                  ; @.str.2
.str.2:
	.asciz	"AA != nullptr"
	.size	.str.2, 14

	.type	.str.3,@object                  ; @.str.3
.str.3:
	.asciz	"info != nullptr"
	.size	.str.3, 16

	.type	.str.4,@object                  ; @.str.4
.str.4:
	.asciz	"A != nullptr"
	.size	.str.4, 13

	.type	.str.6,@object                  ; @.str.6
.str.6:
	.asciz	"(0 <= i) && (i <= (n - 1))"
	.size	.str.6, 27

	.type	__PRETTY_FUNCTION__._ZN9rocsolver6v33100L9idx_lowerIiEET_S2_S2_S2_,@object ; @__PRETTY_FUNCTION__._ZN9rocsolver6v33100L9idx_lowerIiEET_S2_S2_S2_
__PRETTY_FUNCTION__._ZN9rocsolver6v33100L9idx_lowerIiEET_S2_S2_S2_:
	.asciz	"I rocsolver::idx_lower(I, I, I) [I = int]"
	.size	__PRETTY_FUNCTION__._ZN9rocsolver6v33100L9idx_lowerIiEET_S2_S2_S2_, 42

	.type	.str.7,@object                  ; @.str.7
.str.7:
	.asciz	"(0 <= j) && (j <= (n - 1))"
	.size	.str.7, 27

	.type	.str.8,@object                  ; @.str.8
.str.8:
	.asciz	"i >= j"
	.size	.str.8, 7

	.type	__PRETTY_FUNCTION__._ZN9rocsolver6v33100L18potf2_kernel_smallIdiiPKPdEEvbT0_T2_lS5_lPT1_,@object ; @__PRETTY_FUNCTION__._ZN9rocsolver6v33100L18potf2_kernel_smallIdiiPKPdEEvbT0_T2_lS5_lPT1_
__PRETTY_FUNCTION__._ZN9rocsolver6v33100L18potf2_kernel_smallIdiiPKPdEEvbT0_T2_lS5_lPT1_:
	.asciz	"void rocsolver::potf2_kernel_small(const bool, const I, U, const rocblas_stride, const I, const rocblas_stride, INFO *const) [T = double, I = int, INFO = int, U = double *const *]"
	.size	__PRETTY_FUNCTION__._ZN9rocsolver6v33100L18potf2_kernel_smallIdiiPKPdEEvbT0_T2_lS5_lPT1_, 180

	.type	__PRETTY_FUNCTION__._ZN9rocsolver6v33100L18potf2_kernel_smallIdllPdEEvbT0_T2_lS3_lPT1_,@object ; @__PRETTY_FUNCTION__._ZN9rocsolver6v33100L18potf2_kernel_smallIdllPdEEvbT0_T2_lS3_lPT1_
__PRETTY_FUNCTION__._ZN9rocsolver6v33100L18potf2_kernel_smallIdllPdEEvbT0_T2_lS3_lPT1_:
	.asciz	"void rocsolver::potf2_kernel_small(const bool, const I, U, const rocblas_stride, const I, const rocblas_stride, INFO *const) [T = double, I = long, INFO = long, U = double *]"
	.size	__PRETTY_FUNCTION__._ZN9rocsolver6v33100L18potf2_kernel_smallIdllPdEEvbT0_T2_lS3_lPT1_, 175

	.type	__PRETTY_FUNCTION__._ZN9rocsolver6v33100L9idx_lowerIlEET_S2_S2_S2_,@object ; @__PRETTY_FUNCTION__._ZN9rocsolver6v33100L9idx_lowerIlEET_S2_S2_S2_
__PRETTY_FUNCTION__._ZN9rocsolver6v33100L9idx_lowerIlEET_S2_S2_S2_:
	.asciz	"I rocsolver::idx_lower(I, I, I) [I = long]"
	.size	__PRETTY_FUNCTION__._ZN9rocsolver6v33100L9idx_lowerIlEET_S2_S2_S2_, 43

	.type	__PRETTY_FUNCTION__._ZN9rocsolver6v33100L18potf2_kernel_smallIdllPKPdEEvbT0_T2_lS5_lPT1_,@object ; @__PRETTY_FUNCTION__._ZN9rocsolver6v33100L18potf2_kernel_smallIdllPKPdEEvbT0_T2_lS5_lPT1_
__PRETTY_FUNCTION__._ZN9rocsolver6v33100L18potf2_kernel_smallIdllPKPdEEvbT0_T2_lS5_lPT1_:
	.asciz	"void rocsolver::potf2_kernel_small(const bool, const I, U, const rocblas_stride, const I, const rocblas_stride, INFO *const) [T = double, I = long, INFO = long, U = double *const *]"
	.size	__PRETTY_FUNCTION__._ZN9rocsolver6v33100L18potf2_kernel_smallIdllPKPdEEvbT0_T2_lS5_lPT1_, 182

	.type	__PRETTY_FUNCTION__._ZN9rocsolver6v33100L18potf2_kernel_smallIdliPdEEvbT0_T2_lS3_lPT1_,@object ; @__PRETTY_FUNCTION__._ZN9rocsolver6v33100L18potf2_kernel_smallIdliPdEEvbT0_T2_lS3_lPT1_
__PRETTY_FUNCTION__._ZN9rocsolver6v33100L18potf2_kernel_smallIdliPdEEvbT0_T2_lS3_lPT1_:
	.asciz	"void rocsolver::potf2_kernel_small(const bool, const I, U, const rocblas_stride, const I, const rocblas_stride, INFO *const) [T = double, I = long, INFO = int, U = double *]"
	.size	__PRETTY_FUNCTION__._ZN9rocsolver6v33100L18potf2_kernel_smallIdliPdEEvbT0_T2_lS3_lPT1_, 174

	.type	__hip_cuid_f5d0dd93f3042430,@object ; @__hip_cuid_f5d0dd93f3042430
	.section	.bss,"aw",@nobits
	.globl	__hip_cuid_f5d0dd93f3042430
__hip_cuid_f5d0dd93f3042430:
	.byte	0                               ; 0x0
	.size	__hip_cuid_f5d0dd93f3042430, 1

	.ident	"AMD clang version 19.0.0git (https://github.com/RadeonOpenCompute/llvm-project roc-6.4.0 25133 c7fe45cf4b819c5991fe208aaa96edf142730f1d)"
	.section	".note.GNU-stack","",@progbits
	.addrsig
	.addrsig_sym __hip_cuid_f5d0dd93f3042430
	.amdgpu_metadata
---
amdhsa.kernels:
  - .agpr_count:     0
    .args:
      - .offset:         0
        .size:           1
        .value_kind:     by_value
      - .offset:         4
        .size:           4
        .value_kind:     by_value
      - .address_space:  global
        .offset:         8
        .size:           8
        .value_kind:     global_buffer
      - .offset:         16
        .size:           8
        .value_kind:     by_value
      - .offset:         24
        .size:           4
        .value_kind:     by_value
      - .offset:         32
        .size:           8
        .value_kind:     by_value
      - .address_space:  global
        .offset:         40
        .size:           8
        .value_kind:     global_buffer
      - .offset:         48
        .size:           4
        .value_kind:     hidden_block_count_x
      - .offset:         52
        .size:           4
        .value_kind:     hidden_block_count_y
      - .offset:         56
        .size:           4
        .value_kind:     hidden_block_count_z
      - .offset:         60
        .size:           2
        .value_kind:     hidden_group_size_x
      - .offset:         62
        .size:           2
        .value_kind:     hidden_group_size_y
      - .offset:         64
        .size:           2
        .value_kind:     hidden_group_size_z
      - .offset:         66
        .size:           2
        .value_kind:     hidden_remainder_x
      - .offset:         68
        .size:           2
        .value_kind:     hidden_remainder_y
      - .offset:         70
        .size:           2
        .value_kind:     hidden_remainder_z
      - .offset:         88
        .size:           8
        .value_kind:     hidden_global_offset_x
      - .offset:         96
        .size:           8
        .value_kind:     hidden_global_offset_y
      - .offset:         104
        .size:           8
        .value_kind:     hidden_global_offset_z
      - .offset:         112
        .size:           2
        .value_kind:     hidden_grid_dims
      - .offset:         128
        .size:           8
        .value_kind:     hidden_hostcall_buffer
      - .offset:         168
        .size:           4
        .value_kind:     hidden_dynamic_lds_size
    .group_segment_fixed_size: 0
    .kernarg_segment_align: 8
    .kernarg_segment_size: 304
    .language:       OpenCL C
    .language_version:
      - 2
      - 0
    .max_flat_workgroup_size: 1024
    .name:           _ZN9rocsolver6v33100L18potf2_kernel_smallIdiiPdEEvbT0_T2_lS3_lPT1_
    .private_segment_fixed_size: 64
    .sgpr_count:     91
    .sgpr_spill_count: 0
    .symbol:         _ZN9rocsolver6v33100L18potf2_kernel_smallIdiiPdEEvbT0_T2_lS3_lPT1_.kd
    .uniform_work_group_size: 1
    .uses_dynamic_stack: false
    .vgpr_count:     51
    .vgpr_spill_count: 0
    .wavefront_size: 64
  - .agpr_count:     0
    .args:
      - .offset:         0
        .size:           1
        .value_kind:     by_value
      - .offset:         4
        .size:           4
        .value_kind:     by_value
      - .address_space:  global
        .offset:         8
        .size:           8
        .value_kind:     global_buffer
      - .offset:         16
        .size:           8
        .value_kind:     by_value
      - .offset:         24
        .size:           4
        .value_kind:     by_value
      - .offset:         32
        .size:           8
        .value_kind:     by_value
      - .address_space:  global
        .offset:         40
        .size:           8
        .value_kind:     global_buffer
      - .offset:         48
        .size:           4
        .value_kind:     hidden_block_count_x
      - .offset:         52
        .size:           4
        .value_kind:     hidden_block_count_y
      - .offset:         56
        .size:           4
        .value_kind:     hidden_block_count_z
      - .offset:         60
        .size:           2
        .value_kind:     hidden_group_size_x
      - .offset:         62
        .size:           2
        .value_kind:     hidden_group_size_y
      - .offset:         64
        .size:           2
        .value_kind:     hidden_group_size_z
      - .offset:         66
        .size:           2
        .value_kind:     hidden_remainder_x
      - .offset:         68
        .size:           2
        .value_kind:     hidden_remainder_y
      - .offset:         70
        .size:           2
        .value_kind:     hidden_remainder_z
      - .offset:         88
        .size:           8
        .value_kind:     hidden_global_offset_x
      - .offset:         96
        .size:           8
        .value_kind:     hidden_global_offset_y
      - .offset:         104
        .size:           8
        .value_kind:     hidden_global_offset_z
      - .offset:         112
        .size:           2
        .value_kind:     hidden_grid_dims
      - .offset:         128
        .size:           8
        .value_kind:     hidden_hostcall_buffer
      - .offset:         168
        .size:           4
        .value_kind:     hidden_dynamic_lds_size
    .group_segment_fixed_size: 0
    .kernarg_segment_align: 8
    .kernarg_segment_size: 304
    .language:       OpenCL C
    .language_version:
      - 2
      - 0
    .max_flat_workgroup_size: 1024
    .name:           _ZN9rocsolver6v33100L18potf2_kernel_smallIdiiPKPdEEvbT0_T2_lS5_lPT1_
    .private_segment_fixed_size: 64
    .sgpr_count:     89
    .sgpr_spill_count: 0
    .symbol:         _ZN9rocsolver6v33100L18potf2_kernel_smallIdiiPKPdEEvbT0_T2_lS5_lPT1_.kd
    .uniform_work_group_size: 1
    .uses_dynamic_stack: false
    .vgpr_count:     51
    .vgpr_spill_count: 0
    .wavefront_size: 64
  - .agpr_count:     0
    .args:
      - .offset:         0
        .size:           1
        .value_kind:     by_value
      - .offset:         8
        .size:           8
        .value_kind:     by_value
      - .address_space:  global
        .offset:         16
        .size:           8
        .value_kind:     global_buffer
      - .offset:         24
        .size:           8
        .value_kind:     by_value
      - .offset:         32
        .size:           8
        .value_kind:     by_value
      - .offset:         40
        .size:           8
        .value_kind:     by_value
      - .address_space:  global
        .offset:         48
        .size:           8
        .value_kind:     global_buffer
      - .offset:         56
        .size:           4
        .value_kind:     hidden_block_count_x
      - .offset:         60
        .size:           4
        .value_kind:     hidden_block_count_y
      - .offset:         64
        .size:           4
        .value_kind:     hidden_block_count_z
      - .offset:         68
        .size:           2
        .value_kind:     hidden_group_size_x
      - .offset:         70
        .size:           2
        .value_kind:     hidden_group_size_y
      - .offset:         72
        .size:           2
        .value_kind:     hidden_group_size_z
      - .offset:         74
        .size:           2
        .value_kind:     hidden_remainder_x
      - .offset:         76
        .size:           2
        .value_kind:     hidden_remainder_y
      - .offset:         78
        .size:           2
        .value_kind:     hidden_remainder_z
      - .offset:         96
        .size:           8
        .value_kind:     hidden_global_offset_x
      - .offset:         104
        .size:           8
        .value_kind:     hidden_global_offset_y
      - .offset:         112
        .size:           8
        .value_kind:     hidden_global_offset_z
      - .offset:         120
        .size:           2
        .value_kind:     hidden_grid_dims
      - .offset:         136
        .size:           8
        .value_kind:     hidden_hostcall_buffer
      - .offset:         176
        .size:           4
        .value_kind:     hidden_dynamic_lds_size
    .group_segment_fixed_size: 0
    .kernarg_segment_align: 8
    .kernarg_segment_size: 312
    .language:       OpenCL C
    .language_version:
      - 2
      - 0
    .max_flat_workgroup_size: 1024
    .name:           _ZN9rocsolver6v33100L18potf2_kernel_smallIdllPdEEvbT0_T2_lS3_lPT1_
    .private_segment_fixed_size: 64
    .sgpr_count:     90
    .sgpr_spill_count: 0
    .symbol:         _ZN9rocsolver6v33100L18potf2_kernel_smallIdllPdEEvbT0_T2_lS3_lPT1_.kd
    .uniform_work_group_size: 1
    .uses_dynamic_stack: false
    .vgpr_count:     51
    .vgpr_spill_count: 0
    .wavefront_size: 64
  - .agpr_count:     0
    .args:
      - .offset:         0
        .size:           1
        .value_kind:     by_value
      - .offset:         8
        .size:           8
        .value_kind:     by_value
      - .address_space:  global
        .offset:         16
        .size:           8
        .value_kind:     global_buffer
      - .offset:         24
        .size:           8
        .value_kind:     by_value
      - .offset:         32
        .size:           8
        .value_kind:     by_value
      - .offset:         40
        .size:           8
        .value_kind:     by_value
      - .address_space:  global
        .offset:         48
        .size:           8
        .value_kind:     global_buffer
      - .offset:         56
        .size:           4
        .value_kind:     hidden_block_count_x
      - .offset:         60
        .size:           4
        .value_kind:     hidden_block_count_y
      - .offset:         64
        .size:           4
        .value_kind:     hidden_block_count_z
      - .offset:         68
        .size:           2
        .value_kind:     hidden_group_size_x
      - .offset:         70
        .size:           2
        .value_kind:     hidden_group_size_y
      - .offset:         72
        .size:           2
        .value_kind:     hidden_group_size_z
      - .offset:         74
        .size:           2
        .value_kind:     hidden_remainder_x
      - .offset:         76
        .size:           2
        .value_kind:     hidden_remainder_y
      - .offset:         78
        .size:           2
        .value_kind:     hidden_remainder_z
      - .offset:         96
        .size:           8
        .value_kind:     hidden_global_offset_x
      - .offset:         104
        .size:           8
        .value_kind:     hidden_global_offset_y
      - .offset:         112
        .size:           8
        .value_kind:     hidden_global_offset_z
      - .offset:         120
        .size:           2
        .value_kind:     hidden_grid_dims
      - .offset:         136
        .size:           8
        .value_kind:     hidden_hostcall_buffer
      - .offset:         176
        .size:           4
        .value_kind:     hidden_dynamic_lds_size
    .group_segment_fixed_size: 0
    .kernarg_segment_align: 8
    .kernarg_segment_size: 312
    .language:       OpenCL C
    .language_version:
      - 2
      - 0
    .max_flat_workgroup_size: 1024
    .name:           _ZN9rocsolver6v33100L18potf2_kernel_smallIdllPKPdEEvbT0_T2_lS5_lPT1_
    .private_segment_fixed_size: 64
    .sgpr_count:     85
    .sgpr_spill_count: 0
    .symbol:         _ZN9rocsolver6v33100L18potf2_kernel_smallIdllPKPdEEvbT0_T2_lS5_lPT1_.kd
    .uniform_work_group_size: 1
    .uses_dynamic_stack: false
    .vgpr_count:     51
    .vgpr_spill_count: 0
    .wavefront_size: 64
  - .agpr_count:     0
    .args:
      - .offset:         0
        .size:           1
        .value_kind:     by_value
      - .offset:         8
        .size:           8
        .value_kind:     by_value
      - .address_space:  global
        .offset:         16
        .size:           8
        .value_kind:     global_buffer
      - .offset:         24
        .size:           8
        .value_kind:     by_value
      - .offset:         32
        .size:           8
        .value_kind:     by_value
      - .offset:         40
        .size:           8
        .value_kind:     by_value
      - .address_space:  global
        .offset:         48
        .size:           8
        .value_kind:     global_buffer
      - .offset:         56
        .size:           4
        .value_kind:     hidden_block_count_x
      - .offset:         60
        .size:           4
        .value_kind:     hidden_block_count_y
      - .offset:         64
        .size:           4
        .value_kind:     hidden_block_count_z
      - .offset:         68
        .size:           2
        .value_kind:     hidden_group_size_x
      - .offset:         70
        .size:           2
        .value_kind:     hidden_group_size_y
      - .offset:         72
        .size:           2
        .value_kind:     hidden_group_size_z
      - .offset:         74
        .size:           2
        .value_kind:     hidden_remainder_x
      - .offset:         76
        .size:           2
        .value_kind:     hidden_remainder_y
      - .offset:         78
        .size:           2
        .value_kind:     hidden_remainder_z
      - .offset:         96
        .size:           8
        .value_kind:     hidden_global_offset_x
      - .offset:         104
        .size:           8
        .value_kind:     hidden_global_offset_y
      - .offset:         112
        .size:           8
        .value_kind:     hidden_global_offset_z
      - .offset:         120
        .size:           2
        .value_kind:     hidden_grid_dims
      - .offset:         136
        .size:           8
        .value_kind:     hidden_hostcall_buffer
      - .offset:         176
        .size:           4
        .value_kind:     hidden_dynamic_lds_size
    .group_segment_fixed_size: 0
    .kernarg_segment_align: 8
    .kernarg_segment_size: 312
    .language:       OpenCL C
    .language_version:
      - 2
      - 0
    .max_flat_workgroup_size: 1024
    .name:           _ZN9rocsolver6v33100L18potf2_kernel_smallIdliPdEEvbT0_T2_lS3_lPT1_
    .private_segment_fixed_size: 64
    .sgpr_count:     90
    .sgpr_spill_count: 0
    .symbol:         _ZN9rocsolver6v33100L18potf2_kernel_smallIdliPdEEvbT0_T2_lS3_lPT1_.kd
    .uniform_work_group_size: 1
    .uses_dynamic_stack: false
    .vgpr_count:     51
    .vgpr_spill_count: 0
    .wavefront_size: 64
amdhsa.target:   amdgcn-amd-amdhsa--gfx90a
amdhsa.version:
  - 1
  - 2
...

	.end_amdgpu_metadata
